;; amdgpu-corpus repo=ROCm/rocFFT kind=compiled arch=gfx906 opt=O3
	.text
	.amdgcn_target "amdgcn-amd-amdhsa--gfx906"
	.amdhsa_code_object_version 6
	.protected	bluestein_single_back_len130_dim1_sp_op_CI_CI ; -- Begin function bluestein_single_back_len130_dim1_sp_op_CI_CI
	.globl	bluestein_single_back_len130_dim1_sp_op_CI_CI
	.p2align	8
	.type	bluestein_single_back_len130_dim1_sp_op_CI_CI,@function
bluestein_single_back_len130_dim1_sp_op_CI_CI: ; @bluestein_single_back_len130_dim1_sp_op_CI_CI
; %bb.0:
	s_load_dwordx4 s[0:3], s[4:5], 0x28
	v_mul_u32_u24_e32 v1, 0x13b2, v0
	v_lshrrev_b32_e32 v1, 16, v1
	v_lshl_add_u32 v40, s6, 2, v1
	v_mov_b32_e32 v41, 0
	s_waitcnt lgkmcnt(0)
	v_cmp_gt_u64_e32 vcc, s[0:1], v[40:41]
	s_and_saveexec_b64 s[0:1], vcc
	s_cbranch_execz .LBB0_15
; %bb.1:
	s_load_dwordx2 s[6:7], s[4:5], 0x0
	s_load_dwordx2 s[12:13], s[4:5], 0x38
	v_mul_lo_u16_e32 v2, 13, v1
	v_sub_u16_e32 v45, v0, v2
	v_and_b32_e32 v0, 3, v1
	v_mul_u32_u24_e32 v30, 0x82, v0
	v_cmp_gt_u16_e32 vcc, 10, v45
	v_lshlrev_b32_e32 v46, 3, v45
	v_lshlrev_b32_e32 v47, 3, v30
	s_and_saveexec_b64 s[14:15], vcc
	s_cbranch_execz .LBB0_3
; %bb.2:
	s_load_dwordx2 s[0:1], s[4:5], 0x18
	v_or_b32_e32 v28, 0x50, v45
	s_waitcnt lgkmcnt(0)
	s_load_dwordx4 s[8:11], s[0:1], 0x0
	s_waitcnt lgkmcnt(0)
	v_mad_u64_u32 v[0:1], s[0:1], s10, v40, 0
	v_mad_u64_u32 v[2:3], s[0:1], s8, v45, 0
	;; [unrolled: 1-line block ×4, first 2 shown]
	v_mov_b32_e32 v1, v4
	v_lshlrev_b64 v[0:1], 3, v[0:1]
	v_mov_b32_e32 v3, v5
	v_mov_b32_e32 v6, s3
	v_lshlrev_b64 v[2:3], 3, v[2:3]
	v_add_co_u32_e64 v39, s[0:1], s2, v0
	v_addc_co_u32_e64 v41, s[0:1], v6, v1, s[0:1]
	v_add_co_u32_e64 v0, s[0:1], v39, v2
	v_addc_co_u32_e64 v1, s[0:1], v41, v3, s[0:1]
	s_mul_i32 s0, s9, 0x50
	s_mul_hi_u32 s2, s8, 0x50
	s_add_i32 s2, s2, s0
	s_mul_i32 s3, s8, 0x50
	v_mov_b32_e32 v3, s2
	v_add_co_u32_e64 v2, s[0:1], s3, v0
	v_addc_co_u32_e64 v3, s[0:1], v1, v3, s[0:1]
	v_mov_b32_e32 v5, s2
	v_add_co_u32_e64 v4, s[0:1], s3, v2
	v_addc_co_u32_e64 v5, s[0:1], v3, v5, s[0:1]
	v_mov_b32_e32 v7, s2
	v_add_co_u32_e64 v6, s[0:1], s3, v4
	v_addc_co_u32_e64 v7, s[0:1], v5, v7, s[0:1]
	global_load_dwordx2 v[8:9], v[0:1], off
	global_load_dwordx2 v[10:11], v[2:3], off
	;; [unrolled: 1-line block ×4, first 2 shown]
	global_load_dwordx2 v[16:17], v46, s[6:7]
	global_load_dwordx2 v[18:19], v46, s[6:7] offset:80
	global_load_dwordx2 v[20:21], v46, s[6:7] offset:160
	;; [unrolled: 1-line block ×3, first 2 shown]
	v_mov_b32_e32 v1, s2
	v_add_co_u32_e64 v0, s[0:1], s3, v6
	v_addc_co_u32_e64 v1, s[0:1], v7, v1, s[0:1]
	global_load_dwordx2 v[2:3], v[0:1], off
	v_mov_b32_e32 v4, s2
	v_add_co_u32_e64 v0, s[0:1], s3, v0
	v_addc_co_u32_e64 v1, s[0:1], v1, v4, s[0:1]
	global_load_dwordx2 v[4:5], v[0:1], off
	v_mov_b32_e32 v6, s2
	v_add_co_u32_e64 v0, s[0:1], s3, v0
	v_addc_co_u32_e64 v1, s[0:1], v1, v6, s[0:1]
	v_mad_u64_u32 v[24:25], s[0:1], s8, v28, 0
	global_load_dwordx2 v[6:7], v[0:1], off
	v_mov_b32_e32 v26, s2
	v_add_co_u32_e64 v0, s[0:1], s3, v0
	v_addc_co_u32_e64 v1, s[0:1], v1, v26, s[0:1]
	global_load_dwordx2 v[26:27], v[0:1], off
	global_load_dwordx2 v[31:32], v46, s[6:7] offset:320
	global_load_dwordx2 v[33:34], v46, s[6:7] offset:400
	global_load_dwordx2 v[35:36], v46, s[6:7] offset:480
	global_load_dwordx2 v[37:38], v46, s[6:7] offset:560
	s_waitcnt vmcnt(4)
	v_mad_u64_u32 v[28:29], s[0:1], s9, v28, v[25:26]
	v_mov_b32_e32 v25, v28
	v_lshlrev_b64 v[24:25], 3, v[24:25]
	v_mov_b32_e32 v28, 0xa0
	v_mad_u64_u32 v[0:1], s[0:1], s8, v28, v[0:1]
	v_add_co_u32_e64 v24, s[0:1], v39, v24
	v_addc_co_u32_e64 v25, s[0:1], v41, v25, s[0:1]
	s_mul_i32 s0, s9, 0xa0
	v_add_u32_e32 v1, s0, v1
	global_load_dwordx2 v[24:25], v[24:25], off
	s_nop 0
	global_load_dwordx2 v[28:29], v[0:1], off
	global_load_dwordx2 v[41:42], v46, s[6:7] offset:640
	global_load_dwordx2 v[43:44], v46, s[6:7] offset:720
	v_mov_b32_e32 v39, s2
	v_add_co_u32_e64 v0, s[0:1], s3, v0
	v_addc_co_u32_e64 v1, s[0:1], v1, v39, s[0:1]
	global_load_dwordx2 v[48:49], v[0:1], off
	v_add_co_u32_e64 v0, s[0:1], s3, v0
	v_addc_co_u32_e64 v1, s[0:1], v1, v39, s[0:1]
	global_load_dwordx2 v[50:51], v46, s[6:7] offset:800
	global_load_dwordx2 v[52:53], v[0:1], off
	global_load_dwordx2 v[54:55], v46, s[6:7] offset:880
	v_add_co_u32_e64 v0, s[0:1], s3, v0
	v_addc_co_u32_e64 v1, s[0:1], v1, v39, s[0:1]
	global_load_dwordx2 v[56:57], v[0:1], off
	global_load_dwordx2 v[58:59], v46, s[6:7] offset:960
	v_mul_f32_e32 v0, v9, v17
	v_mul_f32_e32 v1, v8, v17
	v_fmac_f32_e32 v0, v8, v16
	v_fma_f32 v1, v9, v16, -v1
	v_lshl_add_u32 v8, v45, 3, v47
	ds_write_b64 v8, v[0:1]
	v_mul_f32_e32 v0, v11, v19
	v_mul_f32_e32 v1, v10, v19
	v_mul_f32_e32 v8, v13, v21
	v_mul_f32_e32 v9, v12, v21
	v_fmac_f32_e32 v0, v10, v18
	v_add_u32_e32 v16, v47, v46
	v_fma_f32 v1, v11, v18, -v1
	v_fmac_f32_e32 v8, v12, v20
	v_fma_f32 v9, v13, v20, -v9
	ds_write2_b64 v16, v[0:1], v[8:9] offset0:10 offset1:20
	s_waitcnt vmcnt(13)
	v_mul_f32_e32 v8, v3, v32
	v_mul_f32_e32 v0, v15, v23
	;; [unrolled: 1-line block ×3, first 2 shown]
	v_fmac_f32_e32 v8, v2, v31
	v_mul_f32_e32 v2, v2, v32
	v_fmac_f32_e32 v0, v14, v22
	v_fma_f32 v1, v15, v22, -v1
	v_fma_f32 v9, v3, v31, -v2
	ds_write2_b64 v16, v[0:1], v[8:9] offset0:30 offset1:40
	s_waitcnt vmcnt(12)
	v_mul_f32_e32 v0, v5, v34
	v_mul_f32_e32 v1, v4, v34
	s_waitcnt vmcnt(11)
	v_mul_f32_e32 v2, v7, v36
	v_mul_f32_e32 v3, v6, v36
	v_fmac_f32_e32 v0, v4, v33
	v_fma_f32 v1, v5, v33, -v1
	v_fmac_f32_e32 v2, v6, v35
	v_fma_f32 v3, v7, v35, -v3
	ds_write2_b64 v16, v[0:1], v[2:3] offset0:50 offset1:60
	s_waitcnt vmcnt(10)
	v_mul_f32_e32 v0, v27, v38
	v_mul_f32_e32 v1, v26, v38
	v_fmac_f32_e32 v0, v26, v37
	v_fma_f32 v1, v27, v37, -v1
	s_waitcnt vmcnt(7)
	v_mul_f32_e32 v2, v25, v42
	v_mul_f32_e32 v3, v24, v42
	v_fmac_f32_e32 v2, v24, v41
	v_fma_f32 v3, v25, v41, -v3
	ds_write2_b64 v16, v[0:1], v[2:3] offset0:70 offset1:80
	s_waitcnt vmcnt(6)
	v_mul_f32_e32 v0, v29, v44
	v_mul_f32_e32 v1, v28, v44
	v_fmac_f32_e32 v0, v28, v43
	v_fma_f32 v1, v29, v43, -v1
	s_waitcnt vmcnt(4)
	v_mul_f32_e32 v2, v49, v51
	v_mul_f32_e32 v3, v48, v51
	v_fmac_f32_e32 v2, v48, v50
	v_fma_f32 v3, v49, v50, -v3
	ds_write2_b64 v16, v[0:1], v[2:3] offset0:90 offset1:100
	s_waitcnt vmcnt(2)
	v_mul_f32_e32 v0, v53, v55
	v_mul_f32_e32 v1, v52, v55
	s_waitcnt vmcnt(0)
	v_mul_f32_e32 v2, v57, v59
	v_mul_f32_e32 v3, v56, v59
	v_fmac_f32_e32 v0, v52, v54
	v_fma_f32 v1, v53, v54, -v1
	v_fmac_f32_e32 v2, v56, v58
	v_fma_f32 v3, v57, v58, -v3
	ds_write2_b64 v16, v[0:1], v[2:3] offset0:110 offset1:120
.LBB0_3:
	s_or_b64 exec, exec, s[14:15]
	s_load_dwordx2 s[0:1], s[4:5], 0x20
	s_load_dwordx2 s[2:3], s[4:5], 0x8
	v_mov_b32_e32 v4, 0
	v_mov_b32_e32 v5, 0
	s_waitcnt lgkmcnt(0)
	; wave barrier
	s_waitcnt lgkmcnt(0)
                                        ; implicit-def: $vgpr10
                                        ; implicit-def: $vgpr12
                                        ; implicit-def: $vgpr24
                                        ; implicit-def: $vgpr28
                                        ; implicit-def: $vgpr22
                                        ; implicit-def: $vgpr18
	s_and_saveexec_b64 s[4:5], vcc
	s_cbranch_execz .LBB0_5
; %bb.4:
	v_lshl_add_u32 v0, v30, 3, v46
	ds_read2_b64 v[4:7], v0 offset1:10
	ds_read2_b64 v[16:19], v0 offset0:20 offset1:30
	ds_read2_b64 v[20:23], v0 offset0:40 offset1:50
	;; [unrolled: 1-line block ×5, first 2 shown]
	ds_read_b64 v[28:29], v0 offset:960
.LBB0_5:
	s_or_b64 exec, exec, s[4:5]
	s_waitcnt lgkmcnt(0)
	v_sub_f32_e32 v62, v7, v29
	v_mul_f32_e32 v44, 0xbeedf032, v62
	v_sub_f32_e32 v64, v17, v27
	v_add_f32_e32 v31, v28, v6
	v_sub_f32_e32 v63, v6, v28
	v_mov_b32_e32 v0, v44
	v_mul_f32_e32 v51, 0xbf52af12, v64
	v_add_f32_e32 v32, v29, v7
	s_mov_b32 s8, 0x3f62ad3f
	v_mul_f32_e32 v50, 0xbeedf032, v63
	v_fmac_f32_e32 v0, 0x3f62ad3f, v31
	v_add_f32_e32 v33, v26, v16
	v_sub_f32_e32 v70, v16, v26
	v_mov_b32_e32 v2, v51
	v_add_f32_e32 v0, v0, v4
	v_fma_f32 v1, v32, s8, -v50
	s_mov_b32 s9, 0x3f116cb1
	v_add_f32_e32 v34, v27, v17
	v_mul_f32_e32 v53, 0xbf52af12, v70
	v_fmac_f32_e32 v2, 0x3f116cb1, v33
	v_sub_f32_e32 v72, v19, v25
	v_add_f32_e32 v1, v1, v5
	v_add_f32_e32 v0, v2, v0
	v_fma_f32 v2, v34, s9, -v53
	v_mul_f32_e32 v54, 0xbf7e222b, v72
	v_add_f32_e32 v1, v2, v1
	v_add_f32_e32 v35, v24, v18
	v_sub_f32_e32 v73, v18, v24
	v_mov_b32_e32 v2, v54
	s_mov_b32 s10, 0x3df6dbef
	v_add_f32_e32 v36, v25, v19
	v_mul_f32_e32 v55, 0xbf7e222b, v73
	v_fmac_f32_e32 v2, 0x3df6dbef, v35
	v_sub_f32_e32 v74, v21, v15
	v_add_f32_e32 v0, v2, v0
	v_fma_f32 v2, v36, s10, -v55
	v_mul_f32_e32 v56, 0xbf6f5d39, v74
	v_add_f32_e32 v1, v2, v1
	v_add_f32_e32 v37, v14, v20
	v_sub_f32_e32 v81, v20, v14
	v_mov_b32_e32 v2, v56
	s_mov_b32 s11, 0xbeb58ec6
	v_add_f32_e32 v38, v15, v21
	v_mul_f32_e32 v57, 0xbf6f5d39, v81
	v_fmac_f32_e32 v2, 0xbeb58ec6, v37
	v_sub_f32_e32 v82, v23, v13
	;; [unrolled: 12-line block ×3, first 2 shown]
	v_add_f32_e32 v0, v2, v0
	v_fma_f32 v2, v43, s15, -v59
	v_mul_f32_e32 v60, 0xbe750f2a, v83
	v_add_f32_e32 v1, v2, v1
	v_add_f32_e32 v49, v10, v8
	v_mov_b32_e32 v2, v60
	v_sub_f32_e32 v85, v8, v10
	s_mov_b32 s14, 0xbf788fa5
	v_fmac_f32_e32 v2, 0xbf788fa5, v49
	v_add_f32_e32 v52, v11, v9
	v_mul_f32_e32 v61, 0xbe750f2a, v85
	v_add_f32_e32 v41, v2, v0
	v_fma_f32 v0, v52, s14, -v61
	v_mul_f32_e32 v65, 0xbf52af12, v62
	v_add_f32_e32 v42, v0, v1
	v_mov_b32_e32 v0, v65
	v_mul_f32_e32 v66, 0xbf6f5d39, v64
	v_fmac_f32_e32 v0, 0x3f116cb1, v31
	v_mov_b32_e32 v1, v66
	v_add_f32_e32 v0, v0, v4
	v_fmac_f32_e32 v1, 0xbeb58ec6, v33
	v_mul_f32_e32 v77, 0xbf52af12, v63
	v_add_f32_e32 v0, v1, v0
	v_fma_f32 v1, v32, s9, -v77
	v_mul_f32_e32 v75, 0xbf6f5d39, v70
	v_add_f32_e32 v1, v1, v5
	v_fma_f32 v2, v34, s11, -v75
	v_mul_f32_e32 v67, 0xbe750f2a, v72
	v_add_f32_e32 v1, v2, v1
	v_mov_b32_e32 v2, v67
	v_fmac_f32_e32 v2, 0xbf788fa5, v35
	v_mul_f32_e32 v76, 0xbe750f2a, v73
	v_add_f32_e32 v0, v2, v0
	v_fma_f32 v2, v36, s14, -v76
	v_mul_f32_e32 v68, 0x3f29c268, v74
	v_add_f32_e32 v1, v2, v1
	v_mov_b32_e32 v2, v68
	v_fmac_f32_e32 v2, 0xbf3f9e67, v37
	;; [unrolled: 7-line block ×4, first 2 shown]
	v_mul_f32_e32 v80, 0x3eedf032, v85
	v_mul_f32_e32 v86, 0xbf7e222b, v62
	v_fma_f32 v3, v52, s8, -v80
	v_add_f32_e32 v2, v2, v0
	v_mov_b32_e32 v0, v86
	v_mul_f32_e32 v91, 0xbe750f2a, v64
	v_add_f32_e32 v3, v3, v1
	v_fmac_f32_e32 v0, 0x3df6dbef, v31
	v_mov_b32_e32 v1, v91
	v_add_f32_e32 v0, v0, v4
	v_fmac_f32_e32 v1, 0xbf788fa5, v33
	v_mul_f32_e32 v87, 0x3f6f5d39, v72
	v_add_f32_e32 v0, v1, v0
	v_mov_b32_e32 v1, v87
	v_fmac_f32_e32 v1, 0xbeb58ec6, v35
	v_mul_f32_e32 v88, 0x3eedf032, v74
	v_add_f32_e32 v0, v1, v0
	v_mov_b32_e32 v1, v88
	;; [unrolled: 4-line block ×4, first 2 shown]
	v_fmac_f32_e32 v1, 0xbf3f9e67, v49
	v_mul_f32_e32 v96, 0xbf7e222b, v63
	v_add_f32_e32 v0, v1, v0
	v_fma_f32 v1, v32, s10, -v96
	v_mul_f32_e32 v97, 0xbe750f2a, v70
	v_add_f32_e32 v1, v1, v5
	v_fma_f32 v48, v34, s14, -v97
	v_mul_f32_e32 v95, 0x3f6f5d39, v73
	v_add_f32_e32 v1, v48, v1
	v_fma_f32 v48, v36, s11, -v95
	v_mul_f32_e32 v94, 0x3eedf032, v81
	v_add_f32_e32 v1, v48, v1
	v_fma_f32 v48, v38, s8, -v94
	v_mul_f32_e32 v93, 0xbf52af12, v84
	v_add_f32_e32 v1, v48, v1
	v_fma_f32 v48, v43, s9, -v93
	v_mul_f32_e32 v92, 0xbf29c268, v85
	v_add_f32_e32 v1, v48, v1
	v_fma_f32 v48, v52, s15, -v92
	v_add_f32_e32 v1, v48, v1
	v_mul_lo_u16_e32 v48, 13, v45
	s_waitcnt lgkmcnt(0)
	; wave barrier
	s_and_saveexec_b64 s[4:5], vcc
	s_cbranch_execz .LBB0_7
; %bb.6:
	v_mul_f32_e32 v102, 0xbe750f2a, v63
	v_mov_b32_e32 v98, v102
	v_mul_f32_e32 v103, 0x3eedf032, v70
	v_fmac_f32_e32 v98, 0xbf788fa5, v32
	v_mov_b32_e32 v99, v103
	v_add_f32_e32 v98, v98, v5
	v_fmac_f32_e32 v99, 0x3f62ad3f, v34
	v_mul_f32_e32 v104, 0xbf29c268, v73
	v_add_f32_e32 v98, v99, v98
	v_mov_b32_e32 v99, v104
	v_fmac_f32_e32 v99, 0xbf3f9e67, v36
	v_mul_f32_e32 v105, 0x3f52af12, v81
	v_add_f32_e32 v98, v99, v98
	v_mov_b32_e32 v99, v105
	;; [unrolled: 4-line block ×4, first 2 shown]
	v_fmac_f32_e32 v99, 0x3df6dbef, v52
	v_mul_f32_e32 v108, 0xbe750f2a, v62
	v_add_f32_e32 v99, v99, v98
	v_fma_f32 v98, v31, s14, -v108
	v_mul_f32_e32 v109, 0x3eedf032, v64
	v_add_f32_e32 v98, v98, v4
	v_fma_f32 v100, v33, s8, -v109
	;; [unrolled: 3-line block ×6, first 2 shown]
	v_mul_f32_e32 v114, 0xbf29c268, v63
	v_add_f32_e32 v98, v100, v98
	v_mov_b32_e32 v100, v114
	v_mul_f32_e32 v115, 0x3f7e222b, v70
	v_fmac_f32_e32 v100, 0xbf3f9e67, v32
	v_mov_b32_e32 v101, v115
	v_add_f32_e32 v100, v100, v5
	v_fmac_f32_e32 v101, 0x3df6dbef, v34
	v_mul_f32_e32 v116, 0xbf52af12, v73
	v_add_f32_e32 v100, v101, v100
	v_mov_b32_e32 v101, v116
	v_fmac_f32_e32 v101, 0x3f116cb1, v36
	v_mul_f32_e32 v117, 0x3e750f2a, v81
	v_add_f32_e32 v100, v101, v100
	v_mov_b32_e32 v101, v117
	;; [unrolled: 4-line block ×3, first 2 shown]
	v_fmac_f32_e32 v101, 0x3f62ad3f, v43
	v_mul_f32_e32 v119, 0xbf29c268, v62
	v_add_f32_e32 v100, v101, v100
	v_fma_f32 v101, v31, s15, -v119
	v_mul_f32_e32 v120, 0x3f7e222b, v64
	v_add_f32_e32 v101, v101, v4
	v_fma_f32 v121, v33, s10, -v120
	v_add_f32_e32 v101, v121, v101
	v_mul_f32_e32 v121, 0xbf52af12, v72
	v_fma_f32 v122, v35, s9, -v121
	v_add_f32_e32 v101, v122, v101
	v_mul_f32_e32 v122, 0x3e750f2a, v74
	;; [unrolled: 3-line block ×3, first 2 shown]
	v_fma_f32 v124, v39, s8, -v123
	v_mul_f32_e32 v125, 0xbf6f5d39, v85
	v_add_f32_e32 v124, v124, v101
	v_mov_b32_e32 v101, v125
	v_fmac_f32_e32 v101, 0xbeb58ec6, v52
	v_mul_f32_e32 v126, 0xbf6f5d39, v83
	v_add_f32_e32 v101, v101, v100
	v_fma_f32 v100, v49, s11, -v126
	v_add_f32_e32 v100, v100, v124
	v_mul_f32_e32 v124, 0xbf6f5d39, v63
	v_mov_b32_e32 v63, v124
	v_mul_f32_e32 v70, 0x3f29c268, v70
	v_fmac_f32_e32 v63, 0xbeb58ec6, v32
	v_mov_b32_e32 v127, v70
	v_add_f32_e32 v63, v63, v5
	v_fmac_f32_e32 v127, 0xbf3f9e67, v34
	v_add_f32_e32 v63, v127, v63
	v_mul_f32_e32 v127, 0x3eedf032, v73
	v_mul_f32_e32 v128, 0xbf6f5d39, v62
	v_mov_b32_e32 v73, v127
	v_fma_f32 v62, v31, s11, -v128
	v_mul_f32_e32 v129, 0x3f29c268, v64
	v_fmac_f32_e32 v73, 0x3f62ad3f, v36
	v_mul_f32_e32 v81, 0xbf7e222b, v81
	v_add_f32_e32 v62, v62, v4
	v_fma_f32 v64, v33, s15, -v129
	v_mul_f32_e32 v130, 0x3eedf032, v72
	v_add_f32_e32 v63, v73, v63
	v_mov_b32_e32 v73, v81
	v_add_f32_e32 v62, v64, v62
	v_fma_f32 v64, v35, s8, -v130
	v_mul_f32_e32 v74, 0xbf7e222b, v74
	v_fmac_f32_e32 v73, 0x3df6dbef, v38
	v_mul_f32_e32 v84, 0x3e750f2a, v84
	v_add_f32_e32 v62, v64, v62
	v_fma_f32 v64, v37, s10, -v74
	v_mul_f32_e32 v82, 0x3e750f2a, v82
	v_add_f32_e32 v63, v73, v63
	v_mov_b32_e32 v73, v84
	v_add_f32_e32 v62, v64, v62
	v_fma_f32 v64, v39, s14, -v82
	v_mul_f32_e32 v85, 0x3f52af12, v85
	v_fmac_f32_e32 v73, 0xbf788fa5, v43
	v_add_f32_e32 v62, v64, v62
	v_mov_b32_e32 v64, v85
	v_add_f32_e32 v63, v73, v63
	v_fmac_f32_e32 v64, 0x3f116cb1, v52
	v_mul_f32_e32 v83, 0x3f52af12, v83
	v_add_f32_e32 v63, v64, v63
	v_fma_f32 v64, v49, s9, -v83
	v_add_f32_e32 v62, v64, v62
	v_mul_f32_e32 v64, 0x3df6dbef, v32
	v_add_f32_e32 v64, v96, v64
	v_mul_f32_e32 v72, 0xbf788fa5, v34
	v_mul_f32_e32 v73, 0x3df6dbef, v31
	v_add_f32_e32 v72, v97, v72
	v_add_f32_e32 v64, v64, v5
	v_sub_f32_e32 v73, v73, v86
	v_mul_f32_e32 v86, 0xbf788fa5, v33
	v_add_f32_e32 v64, v72, v64
	v_mul_f32_e32 v72, 0xbeb58ec6, v36
	v_sub_f32_e32 v86, v86, v91
	v_add_f32_e32 v73, v73, v4
	v_add_f32_e32 v72, v95, v72
	;; [unrolled: 1-line block ×3, first 2 shown]
	v_mul_f32_e32 v86, 0xbeb58ec6, v35
	v_add_f32_e32 v64, v72, v64
	v_mul_f32_e32 v72, 0x3f62ad3f, v38
	v_sub_f32_e32 v86, v86, v87
	v_add_f32_e32 v72, v94, v72
	v_add_f32_e32 v73, v86, v73
	v_mul_f32_e32 v86, 0x3f62ad3f, v37
	v_add_f32_e32 v64, v72, v64
	v_mul_f32_e32 v72, 0x3f116cb1, v43
	v_sub_f32_e32 v86, v86, v88
	v_add_f32_e32 v72, v93, v72
	v_add_f32_e32 v73, v86, v73
	;; [unrolled: 6-line block ×3, first 2 shown]
	v_mul_f32_e32 v73, 0xbf3f9e67, v49
	v_sub_f32_e32 v87, v73, v90
	v_add_f32_e32 v73, v72, v64
	v_mul_f32_e32 v64, 0x3f116cb1, v32
	v_add_f32_e32 v64, v77, v64
	v_mul_f32_e32 v77, 0xbeb58ec6, v34
	v_add_f32_e32 v75, v75, v77
	v_add_f32_e32 v64, v64, v5
	;; [unrolled: 1-line block ×3, first 2 shown]
	v_mul_f32_e32 v75, 0xbf788fa5, v36
	v_add_f32_e32 v75, v76, v75
	v_add_f32_e32 v64, v75, v64
	v_mul_f32_e32 v75, 0xbf3f9e67, v38
	v_add_f32_e32 v75, v78, v75
	v_mul_f32_e32 v77, 0x3f116cb1, v31
	;; [unrolled: 2-line block ×4, first 2 shown]
	v_sub_f32_e32 v65, v77, v65
	v_add_f32_e32 v6, v6, v4
	v_sub_f32_e32 v66, v79, v66
	v_mul_f32_e32 v79, 0xbf788fa5, v35
	v_add_f32_e32 v65, v65, v4
	v_add_f32_e32 v7, v7, v5
	;; [unrolled: 1-line block ×4, first 2 shown]
	v_sub_f32_e32 v67, v79, v67
	v_add_f32_e32 v7, v17, v7
	v_add_f32_e32 v6, v18, v6
	;; [unrolled: 1-line block ×3, first 2 shown]
	v_mul_f32_e32 v67, 0xbf3f9e67, v37
	v_add_f32_e32 v7, v19, v7
	v_add_f32_e32 v6, v20, v6
	;; [unrolled: 1-line block ×3, first 2 shown]
	v_mul_f32_e32 v86, 0x3f62ad3f, v32
	v_sub_f32_e32 v67, v67, v68
	v_add_f32_e32 v7, v21, v7
	v_add_f32_e32 v6, v22, v6
	v_mul_f32_e32 v78, 0x3f116cb1, v34
	v_add_f32_e32 v65, v67, v65
	v_mul_f32_e32 v67, 0x3df6dbef, v39
	v_add_f32_e32 v50, v50, v86
	v_add_f32_e32 v7, v23, v7
	;; [unrolled: 1-line block ×3, first 2 shown]
	v_mul_f32_e32 v77, 0x3df6dbef, v36
	v_sub_f32_e32 v67, v67, v69
	v_add_f32_e32 v50, v50, v5
	v_add_f32_e32 v53, v53, v78
	;; [unrolled: 1-line block ×4, first 2 shown]
	v_fma_f32 v8, v32, s14, -v102
	v_fma_f32 v10, v32, s15, -v114
	v_add_f32_e32 v64, v75, v64
	v_mul_f32_e32 v75, 0x3f62ad3f, v52
	v_mul_f32_e32 v79, 0xbeb58ec6, v38
	v_add_f32_e32 v67, v67, v65
	v_mul_f32_e32 v65, 0x3f62ad3f, v49
	v_add_f32_e32 v50, v53, v50
	v_add_f32_e32 v53, v55, v77
	;; [unrolled: 1-line block ×4, first 2 shown]
	v_fma_f32 v9, v34, s8, -v103
	v_add_f32_e32 v10, v10, v5
	v_fma_f32 v11, v34, s10, -v115
	v_add_f32_e32 v75, v80, v75
	v_mul_f32_e32 v69, 0xbf3f9e67, v43
	v_sub_f32_e32 v71, v65, v71
	v_add_f32_e32 v50, v53, v50
	v_add_f32_e32 v53, v57, v79
	;; [unrolled: 1-line block ×3, first 2 shown]
	v_fma_f32 v9, v36, s15, -v104
	v_add_f32_e32 v10, v11, v10
	v_fma_f32 v11, v36, s9, -v116
	v_mul_f32_e32 v88, 0x3f62ad3f, v31
	v_add_f32_e32 v65, v75, v64
	v_add_f32_e32 v64, v71, v67
	v_mul_f32_e32 v67, 0xbf788fa5, v52
	v_add_f32_e32 v50, v53, v50
	v_add_f32_e32 v53, v59, v69
	;; [unrolled: 1-line block ×3, first 2 shown]
	v_fma_f32 v9, v38, s9, -v105
	v_add_f32_e32 v10, v11, v10
	v_fma_f32 v11, v38, s14, -v117
	v_mul_f32_e32 v76, 0x3f116cb1, v33
	v_add_f32_e32 v50, v53, v50
	v_add_f32_e32 v53, v61, v67
	v_sub_f32_e32 v44, v88, v44
	v_add_f32_e32 v6, v12, v6
	v_add_f32_e32 v8, v9, v8
	v_fma_f32 v9, v43, s11, -v106
	v_add_f32_e32 v10, v11, v10
	v_fma_f32 v11, v43, s8, -v118
	v_fma_f32 v12, v32, s11, -v124
	v_mul_f32_e32 v80, 0x3df6dbef, v35
	v_add_f32_e32 v55, v53, v50
	v_add_f32_e32 v44, v44, v4
	v_sub_f32_e32 v50, v76, v51
	v_add_f32_e32 v8, v9, v8
	v_fma_f32 v9, v52, s10, -v107
	v_fmac_f32_e32 v108, 0xbf788fa5, v31
	v_add_f32_e32 v10, v11, v10
	v_fma_f32 v11, v52, s11, -v125
	v_fmac_f32_e32 v119, 0xbf3f9e67, v31
	v_add_f32_e32 v5, v12, v5
	v_fma_f32 v12, v34, s15, -v70
	v_fmac_f32_e32 v128, 0xbeb58ec6, v31
	v_mul_f32_e32 v66, 0xbeb58ec6, v37
	v_add_f32_e32 v44, v50, v44
	v_sub_f32_e32 v50, v80, v54
	v_add_f32_e32 v7, v13, v7
	v_add_f32_e32 v9, v9, v8
	;; [unrolled: 1-line block ×3, first 2 shown]
	v_fmac_f32_e32 v109, 0x3f62ad3f, v33
	v_add_f32_e32 v11, v11, v10
	v_add_f32_e32 v10, v119, v4
	v_fmac_f32_e32 v120, 0x3df6dbef, v33
	v_add_f32_e32 v5, v12, v5
	v_fma_f32 v12, v36, s8, -v127
	v_add_f32_e32 v4, v128, v4
	v_fmac_f32_e32 v129, 0xbf3f9e67, v33
	v_mul_f32_e32 v68, 0xbf3f9e67, v39
	v_add_f32_e32 v44, v50, v44
	v_sub_f32_e32 v50, v66, v56
	v_add_f32_e32 v7, v15, v7
	v_add_f32_e32 v6, v14, v6
	;; [unrolled: 1-line block ×3, first 2 shown]
	v_fmac_f32_e32 v110, 0xbf3f9e67, v35
	v_add_f32_e32 v10, v120, v10
	v_fmac_f32_e32 v121, 0x3f116cb1, v35
	v_add_f32_e32 v5, v12, v5
	v_fma_f32 v12, v38, s10, -v81
	v_add_f32_e32 v4, v129, v4
	v_fmac_f32_e32 v130, 0x3f62ad3f, v35
	v_mul_f32_e32 v87, 0xbf788fa5, v49
	v_add_f32_e32 v44, v50, v44
	v_sub_f32_e32 v50, v68, v58
	v_add_f32_e32 v7, v25, v7
	v_add_f32_e32 v6, v24, v6
	v_add_f32_e32 v8, v110, v8
	v_fmac_f32_e32 v111, 0x3f116cb1, v37
	v_add_f32_e32 v10, v121, v10
	v_fmac_f32_e32 v122, 0xbf788fa5, v37
	v_add_f32_e32 v5, v12, v5
	v_fma_f32 v12, v43, s14, -v84
	v_add_f32_e32 v4, v130, v4
	v_fmac_f32_e32 v74, 0x3df6dbef, v37
	v_add_f32_e32 v44, v50, v44
	v_sub_f32_e32 v50, v87, v60
	v_add_f32_e32 v7, v27, v7
	v_add_f32_e32 v6, v26, v6
	;; [unrolled: 1-line block ×3, first 2 shown]
	v_fmac_f32_e32 v112, 0xbeb58ec6, v39
	v_add_f32_e32 v10, v122, v10
	v_fmac_f32_e32 v123, 0x3f62ad3f, v39
	v_add_f32_e32 v5, v12, v5
	v_fma_f32 v12, v52, s9, -v85
	v_add_f32_e32 v4, v74, v4
	v_fmac_f32_e32 v82, 0xbf788fa5, v39
	v_add_f32_e32 v54, v50, v44
	v_add_f32_e32 v7, v29, v7
	;; [unrolled: 1-line block ×4, first 2 shown]
	v_fmac_f32_e32 v113, 0x3df6dbef, v49
	v_add_f32_e32 v10, v123, v10
	v_fmac_f32_e32 v126, 0xbeb58ec6, v49
	v_add_f32_e32 v5, v12, v5
	v_add_f32_e32 v4, v82, v4
	v_fmac_f32_e32 v83, 0x3f116cb1, v49
	v_add_lshl_u32 v12, v30, v48, 3
	v_add_f32_e32 v8, v113, v8
	v_add_f32_e32 v10, v126, v10
	;; [unrolled: 1-line block ×3, first 2 shown]
	ds_write2_b64 v12, v[6:7], v[54:55] offset1:1
	ds_write2_b64 v12, v[64:65], v[72:73] offset0:2 offset1:3
	ds_write2_b64 v12, v[62:63], v[100:101] offset0:4 offset1:5
	;; [unrolled: 1-line block ×5, first 2 shown]
	ds_write_b64 v12, v[41:42] offset:96
.LBB0_7:
	s_or_b64 exec, exec, s[4:5]
	v_mov_b32_e32 v5, s3
	s_movk_i32 s4, 0x48
	v_mov_b32_e32 v4, s2
	v_mad_u64_u32 v[20:21], s[2:3], v45, s4, v[4:5]
	s_load_dwordx4 s[0:3], s[0:1], 0x0
	s_waitcnt lgkmcnt(0)
	; wave barrier
	s_waitcnt lgkmcnt(0)
	global_load_dwordx4 v[16:19], v[20:21], off
	global_load_dwordx4 v[12:15], v[20:21], off offset:16
	global_load_dwordx4 v[8:11], v[20:21], off offset:32
	;; [unrolled: 1-line block ×3, first 2 shown]
	global_load_dwordx2 v[43:44], v[20:21], off offset:64
	v_add_lshl_u32 v50, v30, v45, 3
	ds_read2_b64 v[20:23], v50 offset1:13
	ds_read2_b64 v[24:27], v50 offset0:26 offset1:39
	ds_read2_b64 v[28:31], v50 offset0:52 offset1:65
	;; [unrolled: 1-line block ×4, first 2 shown]
	s_mov_b32 s8, 0x3f737871
	s_mov_b32 s9, 0x3f167918
	;; [unrolled: 1-line block ×4, first 2 shown]
	s_waitcnt vmcnt(4) lgkmcnt(4)
	v_mul_f32_e32 v49, v23, v17
	v_mul_f32_e32 v51, v22, v17
	s_waitcnt lgkmcnt(3)
	v_mul_f32_e32 v52, v25, v19
	s_waitcnt vmcnt(3)
	v_mul_f32_e32 v54, v27, v13
	s_waitcnt lgkmcnt(2)
	v_mul_f32_e32 v56, v29, v15
	s_waitcnt vmcnt(2) lgkmcnt(1)
	v_mul_f32_e32 v60, v33, v11
	s_waitcnt vmcnt(1) lgkmcnt(0)
	v_mul_f32_e32 v64, v37, v7
	v_mul_f32_e32 v53, v24, v19
	v_mul_f32_e32 v55, v26, v13
	v_mul_f32_e32 v57, v28, v15
	v_mul_f32_e32 v62, v35, v5
	v_mul_f32_e32 v63, v34, v5
	v_fma_f32 v49, v22, v16, -v49
	v_fmac_f32_e32 v51, v23, v16
	v_fma_f32 v22, v24, v18, -v52
	v_fma_f32 v23, v26, v12, -v54
	;; [unrolled: 1-line block ×5, first 2 shown]
	v_mul_f32_e32 v59, v30, v9
	v_mul_f32_e32 v61, v32, v11
	;; [unrolled: 1-line block ×3, first 2 shown]
	s_waitcnt vmcnt(0)
	v_mul_f32_e32 v66, v39, v44
	v_fmac_f32_e32 v55, v27, v12
	v_fma_f32 v27, v34, v4, -v62
	v_fmac_f32_e32 v63, v35, v4
	v_sub_f32_e32 v34, v22, v24
	v_sub_f32_e32 v35, v28, v26
	v_add_f32_e32 v36, v22, v28
	v_mul_f32_e32 v58, v31, v9
	v_mul_f32_e32 v67, v38, v44
	v_fmac_f32_e32 v57, v29, v14
	v_fmac_f32_e32 v59, v31, v8
	;; [unrolled: 1-line block ×4, first 2 shown]
	v_fma_f32 v29, v38, v43, -v66
	v_add_f32_e32 v31, v24, v26
	v_sub_f32_e32 v37, v24, v22
	v_sub_f32_e32 v38, v26, v28
	v_add_f32_e32 v34, v34, v35
	v_fma_f32 v35, -0.5, v36, v20
	v_fmac_f32_e32 v53, v25, v18
	v_fma_f32 v25, v30, v8, -v58
	v_add_f32_e32 v30, v20, v22
	v_sub_f32_e32 v33, v57, v61
	v_fma_f32 v31, -0.5, v31, v20
	v_add_f32_e32 v20, v37, v38
	v_mov_b32_e32 v38, v35
	v_sub_f32_e32 v32, v53, v65
	v_add_f32_e32 v52, v57, v61
	v_mov_b32_e32 v37, v31
	v_fmac_f32_e32 v35, 0x3f737871, v33
	v_fmac_f32_e32 v38, 0xbf737871, v33
	;; [unrolled: 1-line block ×6, first 2 shown]
	v_fma_f32 v52, -0.5, v52, v21
	v_add_f32_e32 v30, v30, v24
	v_fmac_f32_e32 v31, 0xbf167918, v33
	v_fmac_f32_e32 v37, 0x3f167918, v33
	;; [unrolled: 1-line block ×4, first 2 shown]
	v_sub_f32_e32 v20, v22, v28
	v_mov_b32_e32 v33, v52
	v_add_f32_e32 v30, v30, v26
	v_fmac_f32_e32 v33, 0xbf737871, v20
	v_sub_f32_e32 v22, v24, v26
	v_sub_f32_e32 v24, v53, v57
	v_sub_f32_e32 v26, v65, v61
	v_fmac_f32_e32 v52, 0x3f737871, v20
	v_fmac_f32_e32 v33, 0xbf167918, v22
	v_add_f32_e32 v24, v24, v26
	v_fmac_f32_e32 v52, 0x3f167918, v22
	v_fmac_f32_e32 v33, 0x3e9e377a, v24
	;; [unrolled: 1-line block ×3, first 2 shown]
	v_add_f32_e32 v24, v53, v65
	v_fma_f32 v54, -0.5, v24, v21
	v_mov_b32_e32 v56, v54
	v_fmac_f32_e32 v56, 0x3f737871, v22
	v_fmac_f32_e32 v54, 0xbf737871, v22
	;; [unrolled: 1-line block ×4, first 2 shown]
	v_add_f32_e32 v20, v49, v23
	v_add_f32_e32 v20, v20, v25
	v_fmac_f32_e32 v67, v39, v43
	v_add_f32_e32 v39, v21, v53
	v_add_f32_e32 v20, v20, v27
	;; [unrolled: 1-line block ×6, first 2 shown]
	v_fmac_f32_e32 v31, 0x3e9e377a, v34
	v_fmac_f32_e32 v37, 0x3e9e377a, v34
	v_sub_f32_e32 v21, v57, v53
	v_sub_f32_e32 v24, v61, v65
	v_fma_f32 v34, -0.5, v20, v49
	v_add_f32_e32 v39, v36, v65
	v_add_f32_e32 v21, v21, v24
	v_sub_f32_e32 v20, v55, v67
	v_mov_b32_e32 v36, v34
	v_fmac_f32_e32 v56, 0x3e9e377a, v21
	v_fmac_f32_e32 v54, 0x3e9e377a, v21
	;; [unrolled: 1-line block ×3, first 2 shown]
	v_sub_f32_e32 v21, v59, v63
	v_sub_f32_e32 v22, v23, v25
	;; [unrolled: 1-line block ×3, first 2 shown]
	v_fmac_f32_e32 v34, 0xbf737871, v20
	v_fmac_f32_e32 v36, 0x3f167918, v21
	v_add_f32_e32 v22, v22, v24
	v_fmac_f32_e32 v34, 0xbf167918, v21
	v_fmac_f32_e32 v36, 0x3e9e377a, v22
	;; [unrolled: 1-line block ×3, first 2 shown]
	v_add_f32_e32 v22, v23, v29
	v_fmac_f32_e32 v49, -0.5, v22
	v_mov_b32_e32 v53, v49
	v_fmac_f32_e32 v53, 0xbf737871, v21
	v_fmac_f32_e32 v49, 0x3f737871, v21
	;; [unrolled: 1-line block ×4, first 2 shown]
	v_add_f32_e32 v20, v51, v55
	v_add_f32_e32 v20, v20, v59
	;; [unrolled: 1-line block ×5, first 2 shown]
	v_sub_f32_e32 v22, v25, v23
	v_sub_f32_e32 v24, v27, v29
	v_fma_f32 v58, -0.5, v20, v51
	v_add_f32_e32 v22, v22, v24
	v_sub_f32_e32 v20, v23, v29
	v_mov_b32_e32 v23, v58
	v_fmac_f32_e32 v53, 0x3e9e377a, v22
	v_fmac_f32_e32 v49, 0x3e9e377a, v22
	;; [unrolled: 1-line block ×3, first 2 shown]
	v_sub_f32_e32 v21, v25, v27
	v_sub_f32_e32 v22, v55, v59
	;; [unrolled: 1-line block ×3, first 2 shown]
	v_fmac_f32_e32 v58, 0x3f737871, v20
	v_fmac_f32_e32 v23, 0xbf167918, v21
	v_add_f32_e32 v22, v22, v24
	v_fmac_f32_e32 v58, 0x3f167918, v21
	v_fmac_f32_e32 v23, 0x3e9e377a, v22
	;; [unrolled: 1-line block ×3, first 2 shown]
	v_add_f32_e32 v22, v55, v67
	v_fmac_f32_e32 v51, -0.5, v22
	v_mov_b32_e32 v25, v51
	v_fmac_f32_e32 v25, 0x3f737871, v21
	v_sub_f32_e32 v22, v59, v55
	v_sub_f32_e32 v24, v63, v67
	v_fmac_f32_e32 v25, 0xbf167918, v20
	v_add_f32_e32 v22, v22, v24
	v_fmac_f32_e32 v51, 0xbf737871, v21
	v_fmac_f32_e32 v25, 0x3e9e377a, v22
	;; [unrolled: 1-line block ×4, first 2 shown]
	v_mul_f32_e32 v59, 0x3f737871, v25
	v_mul_f32_e32 v21, 0x3e9e377a, v49
	;; [unrolled: 1-line block ×3, first 2 shown]
	v_fmac_f32_e32 v59, 0x3e9e377a, v53
	v_fma_f32 v60, v51, s8, -v21
	v_mul_f32_e32 v21, 0x3f4f1bbd, v34
	v_mul_f32_e32 v62, 0xbf167918, v36
	;; [unrolled: 1-line block ×5, first 2 shown]
	v_add_f32_e32 v30, v30, v28
	v_fmac_f32_e32 v55, 0x3f4f1bbd, v36
	v_fma_f32 v61, v58, s9, -v21
	v_fmac_f32_e32 v62, 0x3f4f1bbd, v23
	v_fmac_f32_e32 v53, 0x3e9e377a, v25
	v_fma_f32 v49, v49, s4, -v27
	v_fma_f32 v51, v34, s5, -v29
	v_add_f32_e32 v20, v30, v32
	v_add_f32_e32 v22, v37, v55
	;; [unrolled: 1-line block ×10, first 2 shown]
	v_sub_f32_e32 v30, v30, v32
	v_sub_f32_e32 v32, v37, v55
	v_sub_f32_e32 v34, v38, v59
	v_sub_f32_e32 v36, v35, v60
	v_sub_f32_e32 v38, v31, v61
	v_sub_f32_e32 v31, v39, v57
	v_sub_f32_e32 v33, v33, v62
	v_sub_f32_e32 v35, v56, v53
	v_sub_f32_e32 v37, v54, v49
	v_sub_f32_e32 v39, v52, v51
	v_lshl_add_u32 v49, v45, 3, v47
	ds_write2_b64 v49, v[20:21], v[22:23] offset1:13
	ds_write2_b64 v49, v[24:25], v[26:27] offset0:26 offset1:39
	ds_write2_b64 v49, v[28:29], v[30:31] offset0:52 offset1:65
	;; [unrolled: 1-line block ×4, first 2 shown]
	s_waitcnt lgkmcnt(0)
	; wave barrier
	s_waitcnt lgkmcnt(0)
	s_and_saveexec_b64 s[4:5], vcc
	s_cbranch_execz .LBB0_9
; %bb.8:
	global_load_dwordx2 v[75:76], v46, s[6:7] offset:1040
	s_add_u32 s8, s6, 0x410
	s_addc_u32 s9, s7, 0
	global_load_dwordx2 v[77:78], v46, s[8:9] offset:80
	global_load_dwordx2 v[79:80], v46, s[8:9] offset:160
	global_load_dwordx2 v[81:82], v46, s[8:9] offset:240
	global_load_dwordx2 v[83:84], v46, s[8:9] offset:320
	global_load_dwordx2 v[85:86], v46, s[8:9] offset:400
	global_load_dwordx2 v[87:88], v46, s[8:9] offset:480
	global_load_dwordx2 v[89:90], v46, s[8:9] offset:560
	global_load_dwordx2 v[91:92], v46, s[8:9] offset:640
	global_load_dwordx2 v[93:94], v46, s[8:9] offset:720
	global_load_dwordx2 v[95:96], v46, s[8:9] offset:800
	global_load_dwordx2 v[97:98], v46, s[8:9] offset:880
	global_load_dwordx2 v[99:100], v46, s[8:9] offset:960
	ds_read2_b64 v[51:54], v49 offset1:10
	ds_read2_b64 v[55:58], v49 offset0:20 offset1:30
	ds_read2_b64 v[59:62], v49 offset0:40 offset1:50
	;; [unrolled: 1-line block ×5, first 2 shown]
	ds_read_b64 v[101:102], v49 offset:960
	s_waitcnt vmcnt(9) lgkmcnt(5)
	v_mul_f32_e32 v105, v58, v82
	s_waitcnt vmcnt(8) lgkmcnt(4)
	v_mul_f32_e32 v106, v60, v84
	s_waitcnt vmcnt(7)
	v_mul_f32_e32 v107, v62, v86
	s_waitcnt vmcnt(6) lgkmcnt(3)
	v_mul_f32_e32 v108, v64, v88
	s_waitcnt vmcnt(5)
	v_mul_f32_e32 v109, v66, v90
	s_waitcnt vmcnt(4) lgkmcnt(2)
	v_mul_f32_e32 v110, v68, v92
	v_mul_f32_e32 v103, v52, v76
	;; [unrolled: 1-line block ×3, first 2 shown]
	v_fma_f32 v103, v51, v75, -v103
	v_fmac_f32_e32 v104, v52, v75
	v_mul_f32_e32 v51, v54, v78
	v_mul_f32_e32 v52, v53, v78
	;; [unrolled: 1-line block ×10, first 2 shown]
	s_waitcnt vmcnt(3)
	v_mul_f32_e32 v111, v70, v94
	v_mul_f32_e32 v90, v69, v94
	s_waitcnt vmcnt(2) lgkmcnt(1)
	v_mul_f32_e32 v112, v72, v96
	v_mul_f32_e32 v92, v71, v96
	s_waitcnt vmcnt(1)
	v_mul_f32_e32 v113, v74, v98
	v_mul_f32_e32 v94, v73, v98
	s_waitcnt vmcnt(0) lgkmcnt(0)
	v_mul_f32_e32 v98, v102, v100
	v_mul_f32_e32 v96, v101, v100
	v_fma_f32 v51, v53, v77, -v51
	v_fmac_f32_e32 v52, v54, v77
	v_fma_f32 v75, v55, v79, -v75
	v_fmac_f32_e32 v76, v56, v79
	;; [unrolled: 2-line block ×12, first 2 shown]
	ds_write2_b64 v49, v[103:104], v[51:52] offset1:10
	ds_write2_b64 v49, v[75:76], v[77:78] offset0:20 offset1:30
	ds_write2_b64 v49, v[79:80], v[81:82] offset0:40 offset1:50
	;; [unrolled: 1-line block ×5, first 2 shown]
	ds_write_b64 v49, v[95:96] offset:960
.LBB0_9:
	s_or_b64 exec, exec, s[4:5]
	s_waitcnt lgkmcnt(0)
	; wave barrier
	s_waitcnt lgkmcnt(0)
	s_and_saveexec_b64 s[4:5], vcc
	s_cbranch_execz .LBB0_11
; %bb.10:
	ds_read2_b64 v[20:23], v49 offset1:10
	ds_read2_b64 v[24:27], v49 offset0:20 offset1:30
	ds_read2_b64 v[28:31], v49 offset0:40 offset1:50
	;; [unrolled: 1-line block ×5, first 2 shown]
	ds_read_b64 v[41:42], v49 offset:960
.LBB0_11:
	s_or_b64 exec, exec, s[4:5]
	s_waitcnt lgkmcnt(0)
	; wave barrier
	s_waitcnt lgkmcnt(0)
	s_and_saveexec_b64 s[4:5], vcc
	s_cbranch_execz .LBB0_13
; %bb.12:
	v_add_f32_e32 v61, v42, v23
	v_mul_f32_e32 v63, 0xbf788fa5, v61
	v_add_f32_e32 v62, v3, v25
	v_sub_f32_e32 v64, v22, v41
	v_mov_b32_e32 v51, v63
	v_mul_f32_e32 v65, 0x3f62ad3f, v62
	v_fmac_f32_e32 v51, 0x3e750f2a, v64
	v_sub_f32_e32 v66, v24, v2
	v_mov_b32_e32 v52, v65
	v_add_f32_e32 v67, v1, v27
	v_add_f32_e32 v51, v21, v51
	v_fmac_f32_e32 v52, 0xbeedf032, v66
	v_mul_f32_e32 v68, 0xbf3f9e67, v67
	v_add_f32_e32 v51, v52, v51
	v_sub_f32_e32 v69, v26, v0
	v_mov_b32_e32 v52, v68
	v_add_f32_e32 v70, v39, v29
	v_fmac_f32_e32 v52, 0x3f29c268, v69
	v_mul_f32_e32 v71, 0x3f116cb1, v70
	v_add_f32_e32 v51, v52, v51
	v_sub_f32_e32 v72, v28, v38
	v_mov_b32_e32 v52, v71
	;; [unrolled: 6-line block ×4, first 2 shown]
	v_sub_f32_e32 v80, v23, v42
	v_fmac_f32_e32 v52, 0xbf7e222b, v78
	v_mul_f32_e32 v81, 0xbe750f2a, v80
	v_sub_f32_e32 v83, v25, v3
	v_add_f32_e32 v52, v52, v51
	v_add_f32_e32 v79, v41, v22
	v_mov_b32_e32 v51, v81
	v_mul_f32_e32 v84, 0x3eedf032, v83
	v_fmac_f32_e32 v51, 0xbf788fa5, v79
	v_add_f32_e32 v82, v2, v24
	v_mov_b32_e32 v53, v84
	v_sub_f32_e32 v86, v27, v1
	v_add_f32_e32 v51, v20, v51
	v_fmac_f32_e32 v53, 0x3f62ad3f, v82
	v_mul_f32_e32 v87, 0xbf29c268, v86
	v_add_f32_e32 v51, v53, v51
	v_add_f32_e32 v85, v0, v26
	v_mov_b32_e32 v53, v87
	v_sub_f32_e32 v89, v29, v39
	v_fmac_f32_e32 v53, 0xbf3f9e67, v85
	v_mul_f32_e32 v90, 0x3f52af12, v89
	v_add_f32_e32 v51, v53, v51
	v_add_f32_e32 v88, v38, v28
	v_mov_b32_e32 v53, v90
	v_sub_f32_e32 v92, v31, v37
	;; [unrolled: 6-line block ×3, first 2 shown]
	v_fmac_f32_e32 v53, 0xbeb58ec6, v91
	v_mul_f32_e32 v96, 0x3f7e222b, v95
	v_add_f32_e32 v51, v53, v51
	v_add_f32_e32 v94, v34, v32
	v_mov_b32_e32 v53, v96
	v_fmac_f32_e32 v53, 0x3df6dbef, v94
	v_mul_f32_e32 v97, 0xbf3f9e67, v61
	v_add_f32_e32 v51, v53, v51
	v_mov_b32_e32 v53, v97
	v_mul_f32_e32 v98, 0x3df6dbef, v62
	v_fmac_f32_e32 v53, 0x3f29c268, v64
	v_mov_b32_e32 v54, v98
	v_add_f32_e32 v53, v21, v53
	v_fmac_f32_e32 v54, 0xbf7e222b, v66
	v_mul_f32_e32 v99, 0x3f116cb1, v67
	v_add_f32_e32 v53, v54, v53
	v_mov_b32_e32 v54, v99
	v_fmac_f32_e32 v54, 0x3f52af12, v69
	v_mul_f32_e32 v100, 0xbf788fa5, v70
	v_add_f32_e32 v53, v54, v53
	v_mov_b32_e32 v54, v100
	v_fmac_f32_e32 v54, 0xbe750f2a, v72
	v_mul_f32_e32 v101, 0x3f62ad3f, v73
	v_add_f32_e32 v53, v54, v53
	v_mov_b32_e32 v54, v101
	v_fmac_f32_e32 v54, 0xbeedf032, v75
	v_mul_f32_e32 v102, 0xbeb58ec6, v76
	v_add_f32_e32 v53, v54, v53
	v_mov_b32_e32 v54, v102
	v_fmac_f32_e32 v54, 0x3f6f5d39, v78
	v_mul_f32_e32 v103, 0xbf29c268, v80
	v_add_f32_e32 v54, v54, v53
	v_mov_b32_e32 v53, v103
	v_mul_f32_e32 v104, 0x3f7e222b, v83
	v_fmac_f32_e32 v53, 0xbf3f9e67, v79
	v_mov_b32_e32 v55, v104
	v_add_f32_e32 v53, v20, v53
	v_fmac_f32_e32 v55, 0x3df6dbef, v82
	v_mul_f32_e32 v105, 0xbf52af12, v86
	v_add_f32_e32 v53, v55, v53
	v_mov_b32_e32 v55, v105
	v_fmac_f32_e32 v55, 0x3f116cb1, v85
	v_mul_f32_e32 v106, 0x3e750f2a, v89
	v_add_f32_e32 v53, v55, v53
	v_mov_b32_e32 v55, v106
	v_fmac_f32_e32 v55, 0xbf788fa5, v88
	v_mul_f32_e32 v107, 0x3eedf032, v92
	v_add_f32_e32 v53, v55, v53
	v_mov_b32_e32 v55, v107
	v_fmac_f32_e32 v55, 0x3f62ad3f, v91
	v_mul_f32_e32 v108, 0xbf6f5d39, v95
	;; [unrolled: 24-line block ×3, first 2 shown]
	v_add_f32_e32 v55, v56, v55
	v_mov_b32_e32 v56, v114
	v_fmac_f32_e32 v56, 0xbf52af12, v78
	v_mul_f32_e32 v115, 0xbf6f5d39, v80
	v_add_f32_e32 v56, v56, v55
	v_mov_b32_e32 v55, v115
	v_mul_f32_e32 v116, 0x3f29c268, v83
	v_fmac_f32_e32 v55, 0xbeb58ec6, v79
	v_mov_b32_e32 v57, v116
	v_add_f32_e32 v23, v23, v21
	v_add_f32_e32 v55, v20, v55
	v_fmac_f32_e32 v57, 0xbf3f9e67, v82
	v_mul_f32_e32 v117, 0x3eedf032, v86
	v_add_f32_e32 v23, v25, v23
	v_add_f32_e32 v55, v57, v55
	v_mov_b32_e32 v57, v117
	v_add_f32_e32 v23, v27, v23
	v_fmac_f32_e32 v57, 0x3f62ad3f, v85
	v_mul_f32_e32 v118, 0xbf7e222b, v89
	v_add_f32_e32 v23, v29, v23
	v_add_f32_e32 v55, v57, v55
	v_mov_b32_e32 v57, v118
	;; [unrolled: 6-line block ×5, first 2 shown]
	v_mul_f32_e32 v122, 0xbf788fa5, v62
	v_add_f32_e32 v1, v3, v1
	v_add_f32_e32 v3, v22, v20
	v_fmac_f32_e32 v57, 0x3f7e222b, v64
	v_mov_b32_e32 v58, v122
	v_add_f32_e32 v3, v24, v3
	v_add_f32_e32 v57, v21, v57
	v_fmac_f32_e32 v58, 0x3e750f2a, v66
	v_mul_f32_e32 v123, 0xbeb58ec6, v67
	v_add_f32_e32 v3, v26, v3
	v_add_f32_e32 v57, v58, v57
	v_mov_b32_e32 v58, v123
	v_add_f32_e32 v3, v28, v3
	v_fmac_f32_e32 v58, 0xbf6f5d39, v69
	v_mul_f32_e32 v124, 0x3f62ad3f, v70
	v_add_f32_e32 v3, v30, v3
	v_add_f32_e32 v57, v58, v57
	v_mov_b32_e32 v58, v124
	;; [unrolled: 6-line block ×4, first 2 shown]
	v_add_f32_e32 v0, v0, v3
	v_fmac_f32_e32 v63, 0xbe750f2a, v64
	v_fmac_f32_e32 v58, 0x3f29c268, v78
	v_mul_f32_e32 v127, 0xbf7e222b, v80
	v_add_f32_e32 v0, v2, v0
	v_add_f32_e32 v2, v21, v63
	v_fmac_f32_e32 v65, 0x3eedf032, v66
	v_add_f32_e32 v58, v58, v57
	v_mov_b32_e32 v57, v127
	v_mul_f32_e32 v128, 0xbe750f2a, v83
	v_add_f32_e32 v2, v65, v2
	v_fmac_f32_e32 v68, 0xbf29c268, v69
	v_fmac_f32_e32 v57, 0x3df6dbef, v79
	v_mov_b32_e32 v59, v128
	v_add_f32_e32 v2, v68, v2
	v_fmac_f32_e32 v71, 0x3f52af12, v72
	v_add_f32_e32 v57, v20, v57
	v_fmac_f32_e32 v59, 0xbf788fa5, v82
	v_mul_f32_e32 v129, 0x3f6f5d39, v86
	v_add_f32_e32 v2, v71, v2
	v_fmac_f32_e32 v74, 0xbf6f5d39, v75
	s_mov_b32 s8, 0xbf788fa5
	v_add_f32_e32 v57, v59, v57
	v_mov_b32_e32 v59, v129
	v_add_f32_e32 v2, v74, v2
	v_fmac_f32_e32 v77, 0x3f7e222b, v78
	s_mov_b32 s10, 0x3f62ad3f
	v_fmac_f32_e32 v59, 0xbeb58ec6, v85
	v_mul_f32_e32 v130, 0x3eedf032, v89
	v_add_f32_e32 v3, v77, v2
	v_fma_f32 v2, v79, s8, -v81
	s_mov_b32 s9, 0xbf3f9e67
	v_add_f32_e32 v57, v59, v57
	v_mov_b32_e32 v59, v130
	v_add_f32_e32 v2, v20, v2
	v_fma_f32 v22, v82, s10, -v84
	s_mov_b32 s11, 0x3f116cb1
	v_fmac_f32_e32 v59, 0x3f62ad3f, v88
	v_mul_f32_e32 v131, 0xbf52af12, v92
	v_add_f32_e32 v2, v22, v2
	v_fma_f32 v22, v85, s9, -v87
	s_mov_b32 s14, 0xbeb58ec6
	v_add_f32_e32 v57, v59, v57
	v_mov_b32_e32 v59, v131
	v_add_f32_e32 v2, v22, v2
	v_fma_f32 v22, v88, s11, -v90
	s_mov_b32 s15, 0x3df6dbef
	v_fmac_f32_e32 v59, 0x3f116cb1, v91
	v_mul_f32_e32 v132, 0xbf29c268, v95
	v_add_f32_e32 v2, v22, v2
	v_fma_f32 v22, v91, s14, -v93
	v_add_f32_e32 v57, v59, v57
	v_mov_b32_e32 v59, v132
	v_add_f32_e32 v2, v22, v2
	v_fma_f32 v22, v94, s15, -v96
	v_fmac_f32_e32 v97, 0xbf29c268, v64
	v_fmac_f32_e32 v59, 0xbf3f9e67, v94
	v_mul_f32_e32 v133, 0x3f116cb1, v61
	v_add_f32_e32 v2, v22, v2
	v_add_f32_e32 v22, v21, v97
	v_fmac_f32_e32 v98, 0x3f7e222b, v66
	v_add_f32_e32 v57, v59, v57
	v_mov_b32_e32 v59, v133
	v_mul_f32_e32 v134, 0xbeb58ec6, v62
	v_add_f32_e32 v22, v98, v22
	v_fmac_f32_e32 v99, 0xbf52af12, v69
	v_fmac_f32_e32 v59, 0x3f52af12, v64
	v_mov_b32_e32 v60, v134
	v_add_f32_e32 v22, v99, v22
	v_fmac_f32_e32 v100, 0x3e750f2a, v72
	v_add_f32_e32 v59, v21, v59
	v_fmac_f32_e32 v60, 0x3f6f5d39, v66
	v_mul_f32_e32 v135, 0xbf788fa5, v67
	v_add_f32_e32 v22, v100, v22
	v_fmac_f32_e32 v101, 0x3eedf032, v75
	v_add_f32_e32 v59, v60, v59
	v_mov_b32_e32 v60, v135
	v_add_f32_e32 v22, v101, v22
	v_fmac_f32_e32 v102, 0xbf6f5d39, v78
	v_fmac_f32_e32 v60, 0x3e750f2a, v69
	v_mul_f32_e32 v136, 0xbf3f9e67, v70
	v_add_f32_e32 v23, v102, v22
	v_fma_f32 v22, v79, s9, -v103
	v_add_f32_e32 v59, v60, v59
	v_mov_b32_e32 v60, v136
	v_add_f32_e32 v22, v20, v22
	v_fma_f32 v24, v82, s15, -v104
	v_fmac_f32_e32 v60, 0xbf29c268, v72
	v_mul_f32_e32 v137, 0x3df6dbef, v73
	v_add_f32_e32 v22, v24, v22
	v_fma_f32 v24, v85, s11, -v105
	v_add_f32_e32 v59, v60, v59
	v_mov_b32_e32 v60, v137
	v_add_f32_e32 v22, v24, v22
	v_fma_f32 v24, v88, s8, -v106
	v_fmac_f32_e32 v60, 0xbf7e222b, v75
	v_mul_f32_e32 v138, 0x3f62ad3f, v76
	v_add_f32_e32 v22, v24, v22
	v_fma_f32 v24, v91, s10, -v107
	v_add_f32_e32 v59, v60, v59
	v_mov_b32_e32 v60, v138
	v_add_f32_e32 v22, v24, v22
	v_fma_f32 v24, v94, s14, -v108
	v_fmac_f32_e32 v109, 0xbf6f5d39, v64
	v_fmac_f32_e32 v60, 0xbeedf032, v78
	v_mul_f32_e32 v139, 0xbf52af12, v80
	v_add_f32_e32 v22, v24, v22
	v_add_f32_e32 v24, v21, v109
	v_fmac_f32_e32 v110, 0x3f29c268, v66
	v_add_f32_e32 v60, v60, v59
	v_mov_b32_e32 v59, v139
	v_mul_f32_e32 v140, 0xbf6f5d39, v83
	v_add_f32_e32 v24, v110, v24
	v_fmac_f32_e32 v111, 0x3eedf032, v69
	v_fmac_f32_e32 v59, 0x3f116cb1, v79
	v_mov_b32_e32 v141, v140
	v_add_f32_e32 v24, v111, v24
	v_fmac_f32_e32 v112, 0xbf7e222b, v72
	v_add_f32_e32 v59, v20, v59
	v_fmac_f32_e32 v141, 0xbeb58ec6, v82
	v_add_f32_e32 v24, v112, v24
	v_fmac_f32_e32 v113, 0x3e750f2a, v75
	v_add_f32_e32 v59, v141, v59
	v_mul_f32_e32 v141, 0xbe750f2a, v86
	v_add_f32_e32 v24, v113, v24
	v_fmac_f32_e32 v114, 0x3f52af12, v78
	v_mov_b32_e32 v142, v141
	v_add_f32_e32 v25, v114, v24
	v_fma_f32 v24, v79, s14, -v115
	v_fmac_f32_e32 v142, 0xbf788fa5, v85
	v_add_f32_e32 v24, v20, v24
	v_fma_f32 v26, v82, s9, -v116
	v_add_f32_e32 v59, v142, v59
	v_mul_f32_e32 v142, 0x3f29c268, v89
	v_add_f32_e32 v24, v26, v24
	v_fma_f32 v26, v85, s10, -v117
	v_mov_b32_e32 v143, v142
	v_add_f32_e32 v24, v26, v24
	v_fma_f32 v26, v88, s15, -v118
	v_fmac_f32_e32 v143, 0xbf3f9e67, v88
	v_add_f32_e32 v24, v26, v24
	v_fma_f32 v26, v91, s8, -v119
	v_add_f32_e32 v59, v143, v59
	v_mul_f32_e32 v143, 0x3f7e222b, v92
	v_add_f32_e32 v24, v26, v24
	v_fma_f32 v26, v94, s11, -v120
	v_fmac_f32_e32 v121, 0xbf7e222b, v64
	v_mov_b32_e32 v144, v143
	v_add_f32_e32 v24, v26, v24
	v_add_f32_e32 v26, v21, v121
	v_fmac_f32_e32 v122, 0xbe750f2a, v66
	v_fmac_f32_e32 v144, 0x3df6dbef, v91
	v_add_f32_e32 v26, v122, v26
	v_fmac_f32_e32 v123, 0x3f6f5d39, v69
	v_add_f32_e32 v59, v144, v59
	v_mul_f32_e32 v144, 0x3eedf032, v95
	v_add_f32_e32 v26, v123, v26
	v_fmac_f32_e32 v124, 0x3eedf032, v72
	v_mov_b32_e32 v145, v144
	v_add_f32_e32 v26, v124, v26
	v_fmac_f32_e32 v125, 0xbf52af12, v75
	v_fmac_f32_e32 v145, 0x3f62ad3f, v94
	v_add_f32_e32 v26, v125, v26
	v_fmac_f32_e32 v126, 0xbf29c268, v78
	v_add_f32_e32 v59, v145, v59
	v_mul_f32_e32 v145, 0x3f62ad3f, v61
	v_add_f32_e32 v27, v126, v26
	v_fma_f32 v26, v79, s15, -v127
	v_mov_b32_e32 v61, v145
	v_mul_f32_e32 v146, 0x3f116cb1, v62
	v_add_f32_e32 v26, v20, v26
	v_fma_f32 v28, v82, s8, -v128
	v_fmac_f32_e32 v61, 0x3eedf032, v64
	v_mov_b32_e32 v62, v146
	v_add_f32_e32 v26, v28, v26
	v_fma_f32 v28, v85, s14, -v129
	v_add_f32_e32 v61, v21, v61
	v_fmac_f32_e32 v62, 0x3f52af12, v66
	v_mul_f32_e32 v67, 0x3df6dbef, v67
	v_add_f32_e32 v26, v28, v26
	v_fma_f32 v28, v88, s10, -v130
	v_add_f32_e32 v61, v62, v61
	v_mov_b32_e32 v62, v67
	v_add_f32_e32 v26, v28, v26
	v_fma_f32 v28, v91, s11, -v131
	v_fmac_f32_e32 v62, 0x3f7e222b, v69
	v_mul_f32_e32 v70, 0xbeb58ec6, v70
	v_add_f32_e32 v26, v28, v26
	v_fma_f32 v28, v94, s9, -v132
	v_fmac_f32_e32 v133, 0xbf52af12, v64
	v_add_f32_e32 v61, v62, v61
	v_mov_b32_e32 v62, v70
	v_add_f32_e32 v26, v28, v26
	v_add_f32_e32 v28, v21, v133
	v_fmac_f32_e32 v134, 0xbf6f5d39, v66
	v_fmac_f32_e32 v62, 0x3f6f5d39, v72
	v_mul_f32_e32 v73, 0xbf3f9e67, v73
	v_add_f32_e32 v28, v134, v28
	v_fmac_f32_e32 v135, 0xbe750f2a, v69
	v_add_f32_e32 v61, v62, v61
	v_mov_b32_e32 v62, v73
	v_add_f32_e32 v28, v135, v28
	v_fmac_f32_e32 v136, 0x3f29c268, v72
	v_fmac_f32_e32 v62, 0x3f29c268, v75
	v_mul_f32_e32 v76, 0xbf788fa5, v76
	v_add_f32_e32 v28, v136, v28
	v_fmac_f32_e32 v137, 0x3f7e222b, v75
	v_add_f32_e32 v61, v62, v61
	v_mov_b32_e32 v62, v76
	v_add_f32_e32 v28, v137, v28
	v_fmac_f32_e32 v138, 0x3eedf032, v78
	v_fmac_f32_e32 v62, 0x3e750f2a, v78
	v_mul_f32_e32 v80, 0xbeedf032, v80
	v_add_f32_e32 v29, v138, v28
	v_fma_f32 v28, v79, s11, -v139
	v_add_f32_e32 v62, v62, v61
	v_mov_b32_e32 v61, v80
	v_mul_f32_e32 v83, 0xbf52af12, v83
	v_add_f32_e32 v28, v20, v28
	v_fma_f32 v30, v82, s14, -v140
	v_fmac_f32_e32 v61, 0x3f62ad3f, v79
	v_mov_b32_e32 v147, v83
	v_add_f32_e32 v28, v30, v28
	v_fma_f32 v30, v85, s8, -v141
	v_add_f32_e32 v61, v20, v61
	v_fmac_f32_e32 v147, 0x3f116cb1, v82
	v_mul_f32_e32 v86, 0xbf7e222b, v86
	v_add_f32_e32 v28, v30, v28
	v_fma_f32 v30, v88, s9, -v142
	v_add_f32_e32 v61, v147, v61
	v_mov_b32_e32 v147, v86
	v_add_f32_e32 v28, v30, v28
	v_fma_f32 v30, v91, s15, -v143
	v_fmac_f32_e32 v147, 0x3df6dbef, v85
	v_mul_f32_e32 v89, 0xbf6f5d39, v89
	v_add_f32_e32 v28, v30, v28
	v_fma_f32 v30, v94, s10, -v144
	v_add_f32_e32 v61, v147, v61
	v_mov_b32_e32 v147, v89
	v_add_f32_e32 v28, v30, v28
	v_fma_f32 v30, v79, s10, -v80
	v_fmac_f32_e32 v147, 0xbeb58ec6, v88
	v_mul_f32_e32 v92, 0xbf29c268, v92
	v_fmac_f32_e32 v145, 0xbeedf032, v64
	v_add_f32_e32 v20, v20, v30
	v_fma_f32 v30, v82, s11, -v83
	v_add_f32_e32 v61, v147, v61
	v_mov_b32_e32 v147, v92
	v_add_f32_e32 v21, v21, v145
	v_fmac_f32_e32 v146, 0xbf52af12, v66
	v_add_f32_e32 v20, v30, v20
	v_fma_f32 v30, v85, s15, -v86
	v_fmac_f32_e32 v147, 0xbf3f9e67, v91
	v_mul_f32_e32 v95, 0xbe750f2a, v95
	v_add_f32_e32 v21, v146, v21
	v_fmac_f32_e32 v67, 0xbf7e222b, v69
	v_add_f32_e32 v20, v30, v20
	v_fma_f32 v30, v88, s14, -v89
	v_add_f32_e32 v61, v147, v61
	v_mov_b32_e32 v147, v95
	v_add_f32_e32 v21, v67, v21
	v_fmac_f32_e32 v70, 0xbf6f5d39, v72
	v_add_f32_e32 v20, v30, v20
	v_fma_f32 v30, v91, s9, -v92
	v_fmac_f32_e32 v147, 0xbf788fa5, v94
	v_add_f32_e32 v21, v70, v21
	v_fmac_f32_e32 v73, 0xbf29c268, v75
	v_add_f32_e32 v20, v30, v20
	v_fma_f32 v30, v94, s8, -v95
	v_add_f32_e32 v61, v147, v61
	v_add_f32_e32 v1, v42, v1
	;; [unrolled: 1-line block ×4, first 2 shown]
	v_fmac_f32_e32 v76, 0xbe750f2a, v78
	v_add_f32_e32 v20, v30, v20
	v_lshl_add_u32 v30, v48, 3, v47
	v_add_f32_e32 v21, v76, v21
	ds_write2_b64 v30, v[0:1], v[61:62] offset1:1
	ds_write2_b64 v30, v[59:60], v[57:58] offset0:2 offset1:3
	ds_write2_b64 v30, v[55:56], v[53:54] offset0:4 offset1:5
	;; [unrolled: 1-line block ×5, first 2 shown]
	ds_write_b64 v30, v[20:21] offset:96
.LBB0_13:
	s_or_b64 exec, exec, s[4:5]
	s_waitcnt lgkmcnt(0)
	; wave barrier
	s_waitcnt lgkmcnt(0)
	ds_read2_b64 v[0:3], v50 offset1:13
	ds_read2_b64 v[20:23], v50 offset0:26 offset1:39
	ds_read2_b64 v[24:27], v50 offset0:52 offset1:65
	;; [unrolled: 1-line block ×4, first 2 shown]
	s_waitcnt lgkmcnt(4)
	v_mul_f32_e32 v36, v17, v3
	v_fmac_f32_e32 v36, v16, v2
	v_mul_f32_e32 v2, v17, v2
	s_waitcnt lgkmcnt(3)
	v_mul_f32_e32 v17, v13, v23
	v_mul_f32_e32 v13, v13, v22
	v_fmac_f32_e32 v17, v12, v22
	v_fma_f32 v12, v12, v23, -v13
	s_waitcnt lgkmcnt(2)
	v_mul_f32_e32 v13, v15, v25
	v_mul_f32_e32 v15, v15, v24
	v_fmac_f32_e32 v13, v14, v24
	v_fma_f32 v14, v14, v25, -v15
	v_mul_f32_e32 v15, v9, v27
	v_mul_f32_e32 v9, v9, v26
	v_fmac_f32_e32 v15, v8, v26
	v_fma_f32 v8, v8, v27, -v9
	s_waitcnt lgkmcnt(1)
	v_mul_f32_e32 v9, v11, v29
	v_mul_f32_e32 v11, v11, v28
	v_fma_f32 v16, v16, v3, -v2
	v_mul_f32_e32 v2, v19, v21
	v_fmac_f32_e32 v9, v10, v28
	v_fma_f32 v10, v10, v29, -v11
	v_mul_f32_e32 v11, v5, v31
	v_mul_f32_e32 v5, v5, v30
	v_fmac_f32_e32 v2, v18, v20
	v_mul_f32_e32 v3, v19, v20
	v_fmac_f32_e32 v11, v4, v30
	v_fma_f32 v4, v4, v31, -v5
	s_waitcnt lgkmcnt(0)
	v_mul_f32_e32 v5, v7, v33
	v_mul_f32_e32 v7, v7, v32
	v_add_f32_e32 v20, v13, v9
	v_fma_f32 v3, v18, v21, -v3
	v_fmac_f32_e32 v5, v6, v32
	v_fma_f32 v6, v6, v33, -v7
	v_fma_f32 v20, -0.5, v20, v0
	v_sub_f32_e32 v21, v3, v6
	v_mov_b32_e32 v22, v20
	v_fmac_f32_e32 v22, 0xbf737871, v21
	v_sub_f32_e32 v23, v14, v10
	v_sub_f32_e32 v24, v2, v13
	v_sub_f32_e32 v25, v5, v9
	v_fmac_f32_e32 v20, 0x3f737871, v21
	v_fmac_f32_e32 v22, 0xbf167918, v23
	v_add_f32_e32 v24, v24, v25
	v_fmac_f32_e32 v20, 0x3f167918, v23
	v_fmac_f32_e32 v22, 0x3e9e377a, v24
	v_fmac_f32_e32 v20, 0x3e9e377a, v24
	v_add_f32_e32 v24, v2, v5
	v_fma_f32 v24, -0.5, v24, v0
	v_mov_b32_e32 v25, v24
	v_add_f32_e32 v19, v0, v2
	v_fmac_f32_e32 v25, 0x3f737871, v23
	v_sub_f32_e32 v0, v13, v2
	v_sub_f32_e32 v26, v9, v5
	v_fmac_f32_e32 v24, 0xbf737871, v23
	v_fmac_f32_e32 v25, 0xbf167918, v21
	v_add_f32_e32 v0, v0, v26
	v_fmac_f32_e32 v24, 0x3f167918, v21
	v_fmac_f32_e32 v25, 0x3e9e377a, v0
	;; [unrolled: 1-line block ×3, first 2 shown]
	v_add_f32_e32 v0, v1, v3
	v_add_f32_e32 v0, v0, v14
	v_add_f32_e32 v0, v0, v10
	v_add_f32_e32 v21, v0, v6
	v_add_f32_e32 v0, v14, v10
	v_add_f32_e32 v19, v19, v13
	v_fma_f32 v23, -0.5, v0, v1
	v_add_f32_e32 v19, v19, v9
	v_sub_f32_e32 v0, v2, v5
	v_mov_b32_e32 v26, v23
	v_add_f32_e32 v19, v19, v5
	v_fmac_f32_e32 v26, 0x3f737871, v0
	v_sub_f32_e32 v2, v13, v9
	v_sub_f32_e32 v5, v3, v14
	;; [unrolled: 1-line block ×3, first 2 shown]
	v_fmac_f32_e32 v23, 0xbf737871, v0
	v_fmac_f32_e32 v26, 0x3f167918, v2
	v_add_f32_e32 v5, v5, v9
	v_fmac_f32_e32 v23, 0xbf167918, v2
	v_fmac_f32_e32 v26, 0x3e9e377a, v5
	;; [unrolled: 1-line block ×3, first 2 shown]
	v_add_f32_e32 v5, v3, v6
	v_fma_f32 v27, -0.5, v5, v1
	v_mov_b32_e32 v28, v27
	v_fmac_f32_e32 v28, 0xbf737871, v2
	v_fmac_f32_e32 v27, 0x3f737871, v2
	;; [unrolled: 1-line block ×4, first 2 shown]
	v_add_f32_e32 v0, v36, v17
	v_mul_f32_e32 v7, v44, v35
	v_add_f32_e32 v0, v0, v15
	v_fmac_f32_e32 v7, v43, v34
	v_add_f32_e32 v0, v0, v11
	v_mul_f32_e32 v18, v44, v34
	v_sub_f32_e32 v1, v14, v3
	v_sub_f32_e32 v3, v10, v6
	v_add_f32_e32 v10, v0, v7
	v_add_f32_e32 v0, v15, v11
	v_fma_f32 v18, v43, v35, -v18
	v_fma_f32 v9, -0.5, v0, v36
	v_add_f32_e32 v1, v1, v3
	v_sub_f32_e32 v0, v12, v18
	v_mov_b32_e32 v3, v9
	v_fmac_f32_e32 v28, 0x3e9e377a, v1
	v_fmac_f32_e32 v27, 0x3e9e377a, v1
	;; [unrolled: 1-line block ×3, first 2 shown]
	v_sub_f32_e32 v1, v8, v4
	v_sub_f32_e32 v2, v17, v15
	;; [unrolled: 1-line block ×3, first 2 shown]
	v_fmac_f32_e32 v9, 0x3f737871, v0
	v_fmac_f32_e32 v3, 0xbf167918, v1
	v_add_f32_e32 v2, v2, v5
	v_fmac_f32_e32 v9, 0x3f167918, v1
	v_fmac_f32_e32 v3, 0x3e9e377a, v2
	;; [unrolled: 1-line block ×3, first 2 shown]
	v_add_f32_e32 v2, v17, v7
	v_fmac_f32_e32 v36, -0.5, v2
	v_mov_b32_e32 v5, v36
	v_fmac_f32_e32 v5, 0x3f737871, v1
	v_fmac_f32_e32 v36, 0xbf737871, v1
	;; [unrolled: 1-line block ×4, first 2 shown]
	v_add_f32_e32 v0, v16, v12
	v_add_f32_e32 v0, v0, v8
	;; [unrolled: 1-line block ×5, first 2 shown]
	v_sub_f32_e32 v2, v15, v17
	v_sub_f32_e32 v6, v11, v7
	v_fma_f32 v14, -0.5, v0, v16
	v_add_f32_e32 v2, v2, v6
	v_sub_f32_e32 v0, v17, v7
	v_mov_b32_e32 v7, v14
	v_fmac_f32_e32 v5, 0x3e9e377a, v2
	v_fmac_f32_e32 v36, 0x3e9e377a, v2
	;; [unrolled: 1-line block ×3, first 2 shown]
	v_sub_f32_e32 v1, v15, v11
	v_sub_f32_e32 v2, v12, v8
	;; [unrolled: 1-line block ×3, first 2 shown]
	v_fmac_f32_e32 v14, 0xbf737871, v0
	v_fmac_f32_e32 v7, 0x3f167918, v1
	v_add_f32_e32 v2, v2, v6
	v_fmac_f32_e32 v14, 0xbf167918, v1
	v_fmac_f32_e32 v7, 0x3e9e377a, v2
	;; [unrolled: 1-line block ×3, first 2 shown]
	v_add_f32_e32 v2, v12, v18
	v_fmac_f32_e32 v16, -0.5, v2
	v_mov_b32_e32 v11, v16
	v_fmac_f32_e32 v11, 0xbf737871, v1
	v_sub_f32_e32 v2, v8, v12
	v_sub_f32_e32 v4, v4, v18
	v_fmac_f32_e32 v16, 0x3f737871, v1
	v_fmac_f32_e32 v11, 0x3f167918, v0
	v_add_f32_e32 v2, v2, v4
	v_fmac_f32_e32 v16, 0xbf167918, v0
	v_fmac_f32_e32 v11, 0x3e9e377a, v2
	;; [unrolled: 1-line block ×3, first 2 shown]
	v_mul_f32_e32 v12, 0xbf167918, v7
	v_mul_f32_e32 v29, 0x3f4f1bbd, v7
	v_fmac_f32_e32 v12, 0x3f4f1bbd, v3
	v_mul_f32_e32 v15, 0xbf737871, v11
	v_mul_f32_e32 v17, 0xbf737871, v16
	;; [unrolled: 1-line block ×3, first 2 shown]
	v_fmac_f32_e32 v29, 0x3f167918, v3
	v_mul_f32_e32 v30, 0x3e9e377a, v11
	v_mul_f32_e32 v31, 0xbe9e377a, v16
	;; [unrolled: 1-line block ×3, first 2 shown]
	v_add_f32_e32 v0, v19, v10
	v_add_f32_e32 v2, v22, v12
	v_fmac_f32_e32 v15, 0x3e9e377a, v5
	v_fmac_f32_e32 v17, 0xbe9e377a, v36
	;; [unrolled: 1-line block ×3, first 2 shown]
	v_add_f32_e32 v1, v21, v13
	v_add_f32_e32 v3, v26, v29
	v_fmac_f32_e32 v30, 0x3f737871, v5
	v_fmac_f32_e32 v31, 0x3f737871, v36
	;; [unrolled: 1-line block ×3, first 2 shown]
	v_add_f32_e32 v4, v25, v15
	v_add_f32_e32 v6, v24, v17
	;; [unrolled: 1-line block ×6, first 2 shown]
	v_sub_f32_e32 v10, v19, v10
	v_sub_f32_e32 v12, v22, v12
	;; [unrolled: 1-line block ×10, first 2 shown]
	ds_write2_b64 v49, v[0:1], v[2:3] offset1:13
	ds_write2_b64 v49, v[4:5], v[6:7] offset0:26 offset1:39
	ds_write2_b64 v49, v[8:9], v[10:11] offset0:52 offset1:65
	;; [unrolled: 1-line block ×4, first 2 shown]
	s_waitcnt lgkmcnt(0)
	; wave barrier
	s_waitcnt lgkmcnt(0)
	s_and_b64 exec, exec, vcc
	s_cbranch_execz .LBB0_15
; %bb.14:
	global_load_dwordx2 v[8:9], v46, s[6:7]
	global_load_dwordx2 v[10:11], v46, s[6:7] offset:80
	global_load_dwordx2 v[12:13], v46, s[6:7] offset:160
	;; [unrolled: 1-line block ×4, first 2 shown]
	ds_read_b64 v[20:21], v49
	ds_read2_b64 v[0:3], v49 offset0:10 offset1:20
	ds_read2_b64 v[4:7], v49 offset0:30 offset1:40
	global_load_dwordx2 v[24:25], v46, s[6:7] offset:400
	global_load_dwordx2 v[26:27], v46, s[6:7] offset:480
	;; [unrolled: 1-line block ×4, first 2 shown]
	v_mad_u64_u32 v[18:19], s[4:5], s2, v40, 0
	v_mad_u64_u32 v[22:23], s[8:9], s0, v45, 0
	s_waitcnt lgkmcnt(2)
	v_mad_u64_u32 v[32:33], s[10:11], s3, v40, v[19:20]
	v_mov_b32_e32 v35, s13
	s_mul_i32 s8, s1, 0x50
	v_mov_b32_e32 v19, v32
	v_lshlrev_b64 v[18:19], 3, v[18:19]
	s_mul_hi_u32 s9, s0, 0x50
	v_add_co_u32_e32 v38, vcc, s12, v18
	v_addc_co_u32_e32 v39, vcc, v35, v19, vcc
	s_mul_i32 s2, s0, 0x50
	s_add_i32 s8, s9, s8
	v_mov_b32_e32 v36, s8
	s_mov_b32 s4, 0x1f81f820
	s_mov_b32 s5, 0x3f7f81f8
	v_mov_b32_e32 v37, s8
	s_waitcnt vmcnt(7) lgkmcnt(1)
	v_mul_f32_e32 v35, v1, v11
	v_mul_f32_e32 v11, v0, v11
	s_waitcnt vmcnt(5) lgkmcnt(0)
	v_mul_f32_e32 v40, v5, v15
	v_mul_f32_e32 v15, v4, v15
	s_waitcnt vmcnt(3)
	v_mad_u64_u32 v[33:34], s[10:11], s1, v45, v[23:24]
	v_mov_b32_e32 v34, s8
	v_fmac_f32_e32 v35, v0, v10
	v_mov_b32_e32 v23, v33
	v_lshlrev_b64 v[22:23], 3, v[22:23]
	v_fmac_f32_e32 v40, v4, v14
	v_add_co_u32_e32 v18, vcc, v38, v22
	v_addc_co_u32_e32 v19, vcc, v39, v23, vcc
	v_add_co_u32_e32 v22, vcc, s2, v18
	v_addc_co_u32_e32 v23, vcc, v19, v36, vcc
	;; [unrolled: 2-line block ×3, first 2 shown]
	v_mul_f32_e32 v34, v21, v9
	v_mul_f32_e32 v9, v20, v9
	;; [unrolled: 1-line block ×4, first 2 shown]
	v_fmac_f32_e32 v34, v20, v8
	v_fma_f32 v8, v8, v21, -v9
	v_fma_f32 v9, v10, v1, -v11
	v_fmac_f32_e32 v36, v2, v12
	v_fma_f32 v12, v12, v3, -v13
	v_cvt_f64_f32_e32 v[0:1], v34
	v_cvt_f64_f32_e32 v[2:3], v8
	v_fma_f32 v20, v14, v5, -v15
	v_cvt_f64_f32_e32 v[4:5], v35
	v_cvt_f64_f32_e32 v[8:9], v9
	;; [unrolled: 1-line block ×4, first 2 shown]
	v_mul_f64 v[0:1], v[0:1], s[4:5]
	v_mul_f64 v[2:3], v[2:3], s[4:5]
	;; [unrolled: 1-line block ×6, first 2 shown]
	v_cvt_f64_f32_e32 v[14:15], v40
	v_cvt_f64_f32_e32 v[20:21], v20
	v_cvt_f32_f64_e32 v0, v[0:1]
	v_cvt_f32_f64_e32 v1, v[2:3]
	v_cvt_f32_f64_e32 v2, v[4:5]
	v_cvt_f32_f64_e32 v3, v[8:9]
	v_cvt_f32_f64_e32 v4, v[10:11]
	v_cvt_f32_f64_e32 v5, v[12:13]
	v_mul_f64 v[14:15], v[14:15], s[4:5]
	v_mul_f64 v[20:21], v[20:21], s[4:5]
	global_store_dwordx2 v[18:19], v[0:1], off
	global_store_dwordx2 v[22:23], v[2:3], off
	;; [unrolled: 1-line block ×3, first 2 shown]
	v_mul_f32_e32 v0, v6, v17
	v_fma_f32 v0, v16, v7, -v0
	v_cvt_f64_f32_e32 v[4:5], v0
	ds_read2_b64 v[0:3], v49 offset0:50 offset1:60
	v_mul_f32_e32 v41, v7, v17
	v_fmac_f32_e32 v41, v6, v16
	v_cvt_f64_f32_e32 v[34:35], v41
	v_mul_f64 v[4:5], v[4:5], s[4:5]
	v_cvt_f32_f64_e32 v8, v[14:15]
	v_cvt_f32_f64_e32 v9, v[20:21]
	s_waitcnt lgkmcnt(0)
	v_mul_f32_e32 v11, v1, v25
	v_fmac_f32_e32 v11, v0, v24
	v_mul_f32_e32 v0, v0, v25
	v_add_co_u32_e32 v6, vcc, s2, v32
	v_fma_f32 v0, v24, v1, -v0
	v_mul_f64 v[34:35], v[34:35], s[4:5]
	v_addc_co_u32_e32 v7, vcc, v33, v37, vcc
	v_cvt_f64_f32_e32 v[12:13], v11
	v_cvt_f64_f32_e32 v[0:1], v0
	global_store_dwordx2 v[6:7], v[8:9], off
	global_load_dwordx2 v[8:9], v46, s[6:7] offset:720
	v_cvt_f32_f64_e32 v11, v[4:5]
	v_mul_f64 v[4:5], v[12:13], s[4:5]
	global_load_dwordx2 v[12:13], v46, s[6:7] offset:800
	v_mul_f64 v[0:1], v[0:1], s[4:5]
	v_cvt_f32_f64_e32 v10, v[34:35]
	v_mov_b32_e32 v14, s8
	v_add_co_u32_e32 v6, vcc, s2, v6
	v_addc_co_u32_e32 v7, vcc, v7, v14, vcc
	global_store_dwordx2 v[6:7], v[10:11], off
	v_cvt_f32_f64_e32 v4, v[4:5]
	v_cvt_f32_f64_e32 v5, v[0:1]
	v_mov_b32_e32 v0, s8
	v_add_co_u32_e32 v6, vcc, s2, v6
	v_addc_co_u32_e32 v7, vcc, v7, v0, vcc
	s_waitcnt vmcnt(9)
	v_mul_f32_e32 v0, v3, v27
	v_fmac_f32_e32 v0, v2, v26
	v_cvt_f64_f32_e32 v[10:11], v0
	v_mul_f32_e32 v0, v2, v27
	v_fma_f32 v0, v26, v3, -v0
	v_cvt_f64_f32_e32 v[14:15], v0
	ds_read2_b64 v[0:3], v49 offset0:70 offset1:80
	global_store_dwordx2 v[6:7], v[4:5], off
	global_load_dwordx2 v[4:5], v46, s[6:7] offset:880
	v_mul_f64 v[10:11], v[10:11], s[4:5]
	v_mul_f64 v[14:15], v[14:15], s[4:5]
	s_waitcnt vmcnt(10) lgkmcnt(0)
	v_mul_f32_e32 v16, v1, v29
	v_fmac_f32_e32 v16, v0, v28
	v_cvt_f64_f32_e32 v[16:17], v16
	v_mul_f32_e32 v0, v0, v29
	v_fma_f32 v0, v28, v1, -v0
	v_cvt_f64_f32_e32 v[0:1], v0
	v_cvt_f32_f64_e32 v10, v[10:11]
	v_cvt_f32_f64_e32 v11, v[14:15]
	v_mul_f64 v[14:15], v[16:17], s[4:5]
	global_load_dwordx2 v[16:17], v46, s[6:7] offset:960
	v_mul_f64 v[0:1], v[0:1], s[4:5]
	v_mov_b32_e32 v18, s8
	v_add_co_u32_e32 v6, vcc, s2, v6
	v_addc_co_u32_e32 v7, vcc, v7, v18, vcc
	global_store_dwordx2 v[6:7], v[10:11], off
	v_or_b32_e32 v23, 0x50, v45
	v_cvt_f32_f64_e32 v11, v[0:1]
	s_waitcnt vmcnt(11)
	v_mul_f32_e32 v0, v3, v31
	v_fmac_f32_e32 v0, v2, v30
	v_mul_f32_e32 v2, v2, v31
	v_fma_f32 v2, v30, v3, -v2
	v_cvt_f64_f32_e32 v[0:1], v0
	v_cvt_f64_f32_e32 v[2:3], v2
	v_mad_u64_u32 v[20:21], s[6:7], s0, v23, 0
	v_cvt_f32_f64_e32 v10, v[14:15]
	v_mul_f64 v[14:15], v[0:1], s[4:5]
	v_mul_f64 v[18:19], v[2:3], s[4:5]
	v_mov_b32_e32 v22, s8
	v_add_co_u32_e32 v6, vcc, s2, v6
	v_addc_co_u32_e32 v7, vcc, v7, v22, vcc
	v_mov_b32_e32 v0, v21
	global_store_dwordx2 v[6:7], v[10:11], off
	v_mad_u64_u32 v[10:11], s[6:7], s1, v23, v[0:1]
	ds_read2_b64 v[0:3], v49 offset0:90 offset1:100
	v_cvt_f32_f64_e32 v14, v[14:15]
	v_cvt_f32_f64_e32 v15, v[18:19]
	v_mov_b32_e32 v21, v10
	v_lshlrev_b64 v[10:11], 3, v[20:21]
	s_waitcnt vmcnt(7) lgkmcnt(0)
	v_mul_f32_e32 v18, v1, v9
	v_fmac_f32_e32 v18, v0, v8
	v_mul_f32_e32 v0, v0, v9
	v_fma_f32 v0, v8, v1, -v0
	v_cvt_f64_f32_e32 v[18:19], v18
	v_cvt_f64_f32_e32 v[0:1], v0
	v_add_co_u32_e32 v8, vcc, v38, v10
	v_addc_co_u32_e32 v9, vcc, v39, v11, vcc
	s_waitcnt vmcnt(6)
	v_mul_f32_e32 v10, v3, v13
	global_store_dwordx2 v[8:9], v[14:15], off
	v_mul_f64 v[8:9], v[18:19], s[4:5]
	v_mul_f64 v[0:1], v[0:1], s[4:5]
	v_fmac_f32_e32 v10, v2, v12
	v_cvt_f64_f32_e32 v[10:11], v10
	v_mul_f32_e32 v2, v2, v13
	v_fma_f32 v2, v12, v3, -v2
	v_cvt_f64_f32_e32 v[2:3], v2
	v_mul_f64 v[10:11], v[10:11], s[4:5]
	v_mov_b32_e32 v14, 0xa0
	v_mad_u64_u32 v[6:7], s[6:7], s0, v14, v[6:7]
	v_mul_f64 v[12:13], v[2:3], s[4:5]
	v_cvt_f32_f64_e32 v8, v[8:9]
	v_cvt_f32_f64_e32 v9, v[0:1]
	ds_read2_b64 v[0:3], v49 offset0:110 offset1:120
	s_mul_i32 s0, s1, 0xa0
	v_add_u32_e32 v7, s0, v7
	global_store_dwordx2 v[6:7], v[8:9], off
	v_cvt_f32_f64_e32 v8, v[10:11]
	s_waitcnt vmcnt(5) lgkmcnt(0)
	v_mul_f32_e32 v10, v1, v5
	v_fmac_f32_e32 v10, v0, v4
	v_mul_f32_e32 v0, v0, v5
	v_fma_f32 v0, v4, v1, -v0
	v_cvt_f64_f32_e32 v[10:11], v10
	v_cvt_f64_f32_e32 v[0:1], v0
	v_cvt_f32_f64_e32 v9, v[12:13]
	v_mov_b32_e32 v12, s8
	v_add_co_u32_e32 v4, vcc, s2, v6
	v_addc_co_u32_e32 v5, vcc, v7, v12, vcc
	v_mul_f64 v[6:7], v[10:11], s[4:5]
	v_mul_f64 v[0:1], v[0:1], s[4:5]
	global_store_dwordx2 v[4:5], v[8:9], off
	s_waitcnt vmcnt(5)
	v_mul_f32_e32 v8, v3, v17
	v_fmac_f32_e32 v8, v2, v16
	v_mul_f32_e32 v2, v2, v17
	v_fma_f32 v2, v16, v3, -v2
	v_cvt_f64_f32_e32 v[8:9], v8
	v_cvt_f64_f32_e32 v[2:3], v2
	v_cvt_f32_f64_e32 v6, v[6:7]
	v_cvt_f32_f64_e32 v7, v[0:1]
	v_mul_f64 v[0:1], v[8:9], s[4:5]
	v_mul_f64 v[2:3], v[2:3], s[4:5]
	v_mov_b32_e32 v8, s8
	v_add_co_u32_e32 v4, vcc, s2, v4
	v_addc_co_u32_e32 v5, vcc, v5, v8, vcc
	global_store_dwordx2 v[4:5], v[6:7], off
	v_cvt_f32_f64_e32 v0, v[0:1]
	v_cvt_f32_f64_e32 v1, v[2:3]
	v_mov_b32_e32 v3, s8
	v_add_co_u32_e32 v2, vcc, s2, v4
	v_addc_co_u32_e32 v3, vcc, v5, v3, vcc
	global_store_dwordx2 v[2:3], v[0:1], off
.LBB0_15:
	s_endpgm
	.section	.rodata,"a",@progbits
	.p2align	6, 0x0
	.amdhsa_kernel bluestein_single_back_len130_dim1_sp_op_CI_CI
		.amdhsa_group_segment_fixed_size 4160
		.amdhsa_private_segment_fixed_size 0
		.amdhsa_kernarg_size 104
		.amdhsa_user_sgpr_count 6
		.amdhsa_user_sgpr_private_segment_buffer 1
		.amdhsa_user_sgpr_dispatch_ptr 0
		.amdhsa_user_sgpr_queue_ptr 0
		.amdhsa_user_sgpr_kernarg_segment_ptr 1
		.amdhsa_user_sgpr_dispatch_id 0
		.amdhsa_user_sgpr_flat_scratch_init 0
		.amdhsa_user_sgpr_private_segment_size 0
		.amdhsa_uses_dynamic_stack 0
		.amdhsa_system_sgpr_private_segment_wavefront_offset 0
		.amdhsa_system_sgpr_workgroup_id_x 1
		.amdhsa_system_sgpr_workgroup_id_y 0
		.amdhsa_system_sgpr_workgroup_id_z 0
		.amdhsa_system_sgpr_workgroup_info 0
		.amdhsa_system_vgpr_workitem_id 0
		.amdhsa_next_free_vgpr 148
		.amdhsa_next_free_sgpr 16
		.amdhsa_reserve_vcc 1
		.amdhsa_reserve_flat_scratch 0
		.amdhsa_float_round_mode_32 0
		.amdhsa_float_round_mode_16_64 0
		.amdhsa_float_denorm_mode_32 3
		.amdhsa_float_denorm_mode_16_64 3
		.amdhsa_dx10_clamp 1
		.amdhsa_ieee_mode 1
		.amdhsa_fp16_overflow 0
		.amdhsa_exception_fp_ieee_invalid_op 0
		.amdhsa_exception_fp_denorm_src 0
		.amdhsa_exception_fp_ieee_div_zero 0
		.amdhsa_exception_fp_ieee_overflow 0
		.amdhsa_exception_fp_ieee_underflow 0
		.amdhsa_exception_fp_ieee_inexact 0
		.amdhsa_exception_int_div_zero 0
	.end_amdhsa_kernel
	.text
.Lfunc_end0:
	.size	bluestein_single_back_len130_dim1_sp_op_CI_CI, .Lfunc_end0-bluestein_single_back_len130_dim1_sp_op_CI_CI
                                        ; -- End function
	.section	.AMDGPU.csdata,"",@progbits
; Kernel info:
; codeLenInByte = 11504
; NumSgprs: 20
; NumVgprs: 148
; ScratchSize: 0
; MemoryBound: 0
; FloatMode: 240
; IeeeMode: 1
; LDSByteSize: 4160 bytes/workgroup (compile time only)
; SGPRBlocks: 2
; VGPRBlocks: 36
; NumSGPRsForWavesPerEU: 20
; NumVGPRsForWavesPerEU: 148
; Occupancy: 1
; WaveLimiterHint : 1
; COMPUTE_PGM_RSRC2:SCRATCH_EN: 0
; COMPUTE_PGM_RSRC2:USER_SGPR: 6
; COMPUTE_PGM_RSRC2:TRAP_HANDLER: 0
; COMPUTE_PGM_RSRC2:TGID_X_EN: 1
; COMPUTE_PGM_RSRC2:TGID_Y_EN: 0
; COMPUTE_PGM_RSRC2:TGID_Z_EN: 0
; COMPUTE_PGM_RSRC2:TIDIG_COMP_CNT: 0
	.type	__hip_cuid_6d984189ad9164a7,@object ; @__hip_cuid_6d984189ad9164a7
	.section	.bss,"aw",@nobits
	.globl	__hip_cuid_6d984189ad9164a7
__hip_cuid_6d984189ad9164a7:
	.byte	0                               ; 0x0
	.size	__hip_cuid_6d984189ad9164a7, 1

	.ident	"AMD clang version 19.0.0git (https://github.com/RadeonOpenCompute/llvm-project roc-6.4.0 25133 c7fe45cf4b819c5991fe208aaa96edf142730f1d)"
	.section	".note.GNU-stack","",@progbits
	.addrsig
	.addrsig_sym __hip_cuid_6d984189ad9164a7
	.amdgpu_metadata
---
amdhsa.kernels:
  - .args:
      - .actual_access:  read_only
        .address_space:  global
        .offset:         0
        .size:           8
        .value_kind:     global_buffer
      - .actual_access:  read_only
        .address_space:  global
        .offset:         8
        .size:           8
        .value_kind:     global_buffer
      - .actual_access:  read_only
        .address_space:  global
        .offset:         16
        .size:           8
        .value_kind:     global_buffer
      - .actual_access:  read_only
        .address_space:  global
        .offset:         24
        .size:           8
        .value_kind:     global_buffer
      - .actual_access:  read_only
        .address_space:  global
        .offset:         32
        .size:           8
        .value_kind:     global_buffer
      - .offset:         40
        .size:           8
        .value_kind:     by_value
      - .address_space:  global
        .offset:         48
        .size:           8
        .value_kind:     global_buffer
      - .address_space:  global
        .offset:         56
        .size:           8
        .value_kind:     global_buffer
      - .address_space:  global
        .offset:         64
        .size:           8
        .value_kind:     global_buffer
      - .address_space:  global
        .offset:         72
        .size:           8
        .value_kind:     global_buffer
      - .offset:         80
        .size:           4
        .value_kind:     by_value
      - .address_space:  global
        .offset:         88
        .size:           8
        .value_kind:     global_buffer
      - .address_space:  global
        .offset:         96
        .size:           8
        .value_kind:     global_buffer
    .group_segment_fixed_size: 4160
    .kernarg_segment_align: 8
    .kernarg_segment_size: 104
    .language:       OpenCL C
    .language_version:
      - 2
      - 0
    .max_flat_workgroup_size: 52
    .name:           bluestein_single_back_len130_dim1_sp_op_CI_CI
    .private_segment_fixed_size: 0
    .sgpr_count:     20
    .sgpr_spill_count: 0
    .symbol:         bluestein_single_back_len130_dim1_sp_op_CI_CI.kd
    .uniform_work_group_size: 1
    .uses_dynamic_stack: false
    .vgpr_count:     148
    .vgpr_spill_count: 0
    .wavefront_size: 64
amdhsa.target:   amdgcn-amd-amdhsa--gfx906
amdhsa.version:
  - 1
  - 2
...

	.end_amdgpu_metadata
